;; amdgpu-corpus repo=ROCm/rocFFT kind=compiled arch=gfx950 opt=O3
	.text
	.amdgcn_target "amdgcn-amd-amdhsa--gfx950"
	.amdhsa_code_object_version 6
	.protected	bluestein_single_back_len396_dim1_dp_op_CI_CI ; -- Begin function bluestein_single_back_len396_dim1_dp_op_CI_CI
	.globl	bluestein_single_back_len396_dim1_dp_op_CI_CI
	.p2align	8
	.type	bluestein_single_back_len396_dim1_dp_op_CI_CI,@function
bluestein_single_back_len396_dim1_dp_op_CI_CI: ; @bluestein_single_back_len396_dim1_dp_op_CI_CI
; %bb.0:
	s_load_dwordx4 s[4:7], s[0:1], 0x28
	v_mul_u32_u24_e32 v1, 0x5d2, v0
	v_add_u32_sdwa v130, s2, v1 dst_sel:DWORD dst_unused:UNUSED_PAD src0_sel:DWORD src1_sel:WORD_1
	v_mov_b32_e32 v131, 0
	s_waitcnt lgkmcnt(0)
	v_cmp_gt_u64_e32 vcc, s[4:5], v[130:131]
	s_and_saveexec_b64 s[2:3], vcc
	s_cbranch_execz .LBB0_23
; %bb.1:
	s_load_dwordx2 s[12:13], s[0:1], 0x0
	s_load_dwordx2 s[14:15], s[0:1], 0x38
	v_mov_b32_e32 v2, 44
	v_mul_lo_u16_sdwa v1, v1, v2 dst_sel:DWORD dst_unused:UNUSED_PAD src0_sel:WORD_1 src1_sel:DWORD
	v_sub_u16_e32 v212, v0, v1
	v_cmp_gt_u16_e64 s[4:5], 36, v212
	v_lshlrev_b32_e32 v128, 4, v212
	s_and_saveexec_b64 s[2:3], s[4:5]
	s_cbranch_execz .LBB0_3
; %bb.2:
	s_load_dwordx2 s[8:9], s[0:1], 0x18
	v_mov_b32_e32 v0, s6
	v_mov_b32_e32 v1, s7
	;; [unrolled: 1-line block ×4, first 2 shown]
	s_waitcnt lgkmcnt(0)
	s_load_dwordx4 s[8:11], s[8:9], 0x0
	v_lshl_add_u64 v[60:61], s[12:13], 0, v[128:129]
	s_waitcnt lgkmcnt(0)
	v_mad_u64_u32 v[2:3], s[6:7], s10, v130, 0
	v_mad_u64_u32 v[4:5], s[6:7], s8, v212, 0
	v_mov_b32_e32 v6, v3
	v_mov_b32_e32 v8, v5
	v_mad_u64_u32 v[6:7], s[6:7], s11, v130, v[6:7]
	v_mov_b32_e32 v3, v6
	v_mad_u64_u32 v[6:7], s[6:7], s9, v212, v[8:9]
	v_mov_b32_e32 v5, v6
	v_lshl_add_u64 v[0:1], v[2:3], 4, v[0:1]
	v_lshl_add_u64 v[8:9], v[4:5], 4, v[0:1]
	v_mad_u64_u32 v[24:25], s[6:7], s8, v88, v[8:9]
	s_mul_i32 s6, s9, 0x240
	s_nop 0
	v_add_u32_e32 v25, s6, v25
	v_mad_u64_u32 v[26:27], s[10:11], s8, v88, v[24:25]
	global_load_dwordx4 v[0:3], v[8:9], off
	global_load_dwordx4 v[4:7], v128, s[12:13]
	v_add_u32_e32 v27, s6, v27
	v_mad_u64_u32 v[48:49], s[10:11], s8, v88, v[26:27]
	global_load_dwordx4 v[8:11], v128, s[12:13] offset:576
	global_load_dwordx4 v[12:15], v128, s[12:13] offset:1152
	global_load_dwordx4 v[20:23], v[24:25], off
	global_load_dwordx4 v[16:19], v[26:27], off
	v_add_u32_e32 v49, s6, v49
	global_load_dwordx4 v[24:27], v128, s[12:13] offset:1728
	global_load_dwordx4 v[28:31], v128, s[12:13] offset:2304
	;; [unrolled: 1-line block ×5, first 2 shown]
	global_load_dwordx4 v[44:47], v[48:49], off
	v_mad_u64_u32 v[52:53], s[10:11], s8, v88, v[48:49]
	v_add_u32_e32 v53, s6, v53
	global_load_dwordx4 v[48:51], v[52:53], off
	v_mad_u64_u32 v[56:57], s[10:11], s8, v88, v[52:53]
	v_add_u32_e32 v57, s6, v57
	;; [unrolled: 3-line block ×3, first 2 shown]
	s_movk_i32 s7, 0x1000
	global_load_dwordx4 v[56:59], v[62:63], off
	v_mad_u64_u32 v[64:65], s[10:11], s8, v88, v[62:63]
	v_add_co_u32_e32 v84, vcc, s7, v60
	v_add_u32_e32 v65, s6, v65
	s_nop 0
	v_addc_co_u32_e32 v85, vcc, 0, v61, vcc
	global_load_dwordx4 v[60:63], v[64:65], off
	v_mad_u64_u32 v[76:77], s[10:11], s8, v88, v[64:65]
	v_add_u32_e32 v77, s6, v77
	v_mad_u64_u32 v[86:87], s[10:11], s8, v88, v[76:77]
	global_load_dwordx4 v[64:67], v[76:77], off
	global_load_dwordx4 v[68:71], v[84:85], off offset:512
	global_load_dwordx4 v[72:75], v[84:85], off offset:1088
	v_add_u32_e32 v87, s6, v87
	global_load_dwordx4 v[76:79], v[86:87], off
	global_load_dwordx4 v[80:83], v[84:85], off offset:1664
	v_mad_u64_u32 v[84:85], s[8:9], s8, v88, v[86:87]
	v_add_u32_e32 v85, s6, v85
	global_load_dwordx4 v[84:87], v[84:85], off
	s_waitcnt vmcnt(20)
	v_mul_f64 v[88:89], v[2:3], v[6:7]
	v_mul_f64 v[6:7], v[0:1], v[6:7]
	v_fmac_f64_e32 v[88:89], v[0:1], v[4:5]
	v_fma_f64 v[90:91], v[2:3], v[4:5], -v[6:7]
	s_waitcnt vmcnt(17)
	v_mul_f64 v[0:1], v[22:23], v[10:11]
	v_mul_f64 v[2:3], v[20:21], v[10:11]
	v_fmac_f64_e32 v[0:1], v[20:21], v[8:9]
	v_fma_f64 v[2:3], v[22:23], v[8:9], -v[2:3]
	ds_write_b128 v128, v[0:3] offset:576
	s_waitcnt vmcnt(10)
	v_mul_f64 v[0:1], v[46:47], v[26:27]
	v_mul_f64 v[2:3], v[44:45], v[26:27]
	v_fmac_f64_e32 v[0:1], v[44:45], v[24:25]
	v_fma_f64 v[2:3], v[46:47], v[24:25], -v[2:3]
	ds_write_b128 v128, v[0:3] offset:1728
	;; [unrolled: 6-line block ×7, first 2 shown]
	s_waitcnt vmcnt(2)
	v_mul_f64 v[0:1], v[78:79], v[74:75]
	v_mul_f64 v[2:3], v[76:77], v[74:75]
	v_fmac_f64_e32 v[0:1], v[76:77], v[72:73]
	v_fma_f64 v[2:3], v[78:79], v[72:73], -v[2:3]
	v_mul_f64 v[4:5], v[18:19], v[14:15]
	v_mul_f64 v[6:7], v[16:17], v[14:15]
	ds_write_b128 v128, v[0:3] offset:5184
	s_waitcnt vmcnt(0)
	v_mul_f64 v[0:1], v[86:87], v[82:83]
	v_mul_f64 v[2:3], v[84:85], v[82:83]
	v_fmac_f64_e32 v[4:5], v[16:17], v[12:13]
	v_fma_f64 v[6:7], v[18:19], v[12:13], -v[6:7]
	v_fmac_f64_e32 v[0:1], v[84:85], v[80:81]
	v_fma_f64 v[2:3], v[86:87], v[80:81], -v[2:3]
	ds_write_b128 v128, v[88:91]
	ds_write_b128 v128, v[4:7] offset:1152
	ds_write_b128 v128, v[0:3] offset:5760
.LBB0_3:
	s_or_b64 exec, exec, s[2:3]
	s_load_dwordx2 s[2:3], s[0:1], 0x20
	s_load_dwordx2 s[6:7], s[0:1], 0x8
	s_waitcnt lgkmcnt(0)
	; wave barrier
	s_waitcnt lgkmcnt(0)
                                        ; implicit-def: $vgpr0_vgpr1
                                        ; implicit-def: $vgpr8_vgpr9
                                        ; implicit-def: $vgpr16_vgpr17
                                        ; implicit-def: $vgpr28_vgpr29
                                        ; implicit-def: $vgpr32_vgpr33
                                        ; implicit-def: $vgpr40_vgpr41
                                        ; implicit-def: $vgpr36_vgpr37
                                        ; implicit-def: $vgpr24_vgpr25
                                        ; implicit-def: $vgpr20_vgpr21
                                        ; implicit-def: $vgpr12_vgpr13
                                        ; implicit-def: $vgpr4_vgpr5
	s_and_saveexec_b64 s[0:1], s[4:5]
	s_cbranch_execz .LBB0_5
; %bb.4:
	ds_read_b128 v[0:3], v128
	ds_read_b128 v[4:7], v128 offset:576
	ds_read_b128 v[12:15], v128 offset:1152
	;; [unrolled: 1-line block ×10, first 2 shown]
.LBB0_5:
	s_or_b64 exec, exec, s[0:1]
	s_mov_b32 s10, 0xf8bb580b
	s_waitcnt lgkmcnt(0)
	v_add_f64 v[80:81], v[6:7], -v[42:43]
	s_mov_b32 s0, 0x8764f0ba
	s_mov_b32 s11, 0xbfe14ced
	;; [unrolled: 1-line block ×3, first 2 shown]
	v_add_f64 v[58:59], v[40:41], v[4:5]
	s_mov_b32 s1, 0x3feaeb8c
	v_mul_f64 v[52:53], v[80:81], s[10:11]
	s_mov_b32 s8, 0xd9c712b6
	s_mov_b32 s23, 0xbfed1bb4
	v_add_f64 v[96:97], v[14:15], -v[38:39]
	v_add_f64 v[62:63], v[4:5], -v[40:41]
	v_fma_f64 v[44:45], s[0:1], v[58:59], v[52:53]
	s_mov_b32 s9, 0x3fda9628
	v_add_f64 v[76:77], v[36:37], v[12:13]
	v_mul_f64 v[56:57], v[96:97], s[22:23]
	v_add_f64 v[64:65], v[42:43], v[6:7]
	v_mul_f64 v[54:55], v[62:63], s[10:11]
	v_add_f64 v[44:45], v[0:1], v[44:45]
	v_fma_f64 v[46:47], s[8:9], v[76:77], v[56:57]
	v_add_f64 v[86:87], v[12:13], -v[36:37]
	s_mov_b32 s24, 0x43842ef
	v_add_f64 v[44:45], v[46:47], v[44:45]
	v_fma_f64 v[46:47], v[64:65], s[0:1], -v[54:55]
	v_add_f64 v[84:85], v[38:39], v[14:15]
	v_mul_f64 v[60:61], v[86:87], s[22:23]
	s_mov_b32 s18, 0x640f44db
	s_mov_b32 s25, 0xbfefac9e
	v_add_f64 v[110:111], v[10:11], -v[34:35]
	v_add_f64 v[46:47], v[2:3], v[46:47]
	v_fma_f64 v[48:49], v[84:85], s[8:9], -v[60:61]
	s_mov_b32 s19, 0xbfc2375f
	v_add_f64 v[88:89], v[8:9], v[32:33]
	v_mul_f64 v[66:67], v[110:111], s[24:25]
	v_add_f64 v[104:105], v[8:9], -v[32:33]
	s_mov_b32 s28, 0xbb3a28a1
	v_add_f64 v[46:47], v[48:49], v[46:47]
	v_fma_f64 v[48:49], s[18:19], v[88:89], v[66:67]
	v_add_f64 v[94:95], v[10:11], v[34:35]
	v_mul_f64 v[78:79], v[104:105], s[24:25]
	s_mov_b32 s20, 0x7f775887
	s_mov_b32 s29, 0xbfe82f19
	v_add_f64 v[138:139], v[18:19], -v[30:31]
	v_add_f64 v[44:45], v[48:49], v[44:45]
	v_fma_f64 v[48:49], v[94:95], s[18:19], -v[78:79]
	s_mov_b32 s21, 0xbfe4f49e
	v_add_f64 v[98:99], v[16:17], v[28:29]
	v_mul_f64 v[82:83], v[138:139], s[28:29]
	v_add_f64 v[126:127], v[16:17], -v[28:29]
	s_mov_b32 s30, 0xfd768dbf
	v_add_f64 v[46:47], v[48:49], v[46:47]
	v_fma_f64 v[48:49], s[20:21], v[98:99], v[82:83]
	v_add_f64 v[102:103], v[18:19], v[30:31]
	v_mul_f64 v[90:91], v[126:127], s[28:29]
	s_mov_b32 s26, 0x9bcd5057
	s_mov_b32 s31, 0x3fd207e7
	;; [unrolled: 1-line block ×4, first 2 shown]
	v_add_f64 v[140:141], v[22:23], -v[26:27]
	v_add_f64 v[44:45], v[48:49], v[44:45]
	v_fma_f64 v[48:49], v[102:103], s[20:21], -v[90:91]
	s_mov_b32 s27, 0xbfeeb42a
	v_add_f64 v[112:113], v[24:25], v[20:21]
	v_mul_f64 v[92:93], v[140:141], s[34:35]
	v_add_f64 v[142:143], v[20:21], -v[24:25]
	v_add_f64 v[46:47], v[48:49], v[46:47]
	v_fma_f64 v[48:49], s[26:27], v[112:113], v[92:93]
	v_add_f64 v[116:117], v[26:27], v[22:23]
	v_mul_f64 v[100:101], v[142:143], s[34:35]
	v_add_f64 v[68:69], v[48:49], v[44:45]
	v_fma_f64 v[44:45], v[116:117], s[26:27], -v[100:101]
	v_mul_f64 v[106:107], v[80:81], s[22:23]
	v_add_f64 v[70:71], v[44:45], v[46:47]
	v_fma_f64 v[44:45], s[8:9], v[58:59], v[106:107]
	v_mul_f64 v[108:109], v[96:97], s[28:29]
	v_add_f64 v[44:45], v[0:1], v[44:45]
	v_fma_f64 v[46:47], s[20:21], v[76:77], v[108:109]
	v_mul_f64 v[118:119], v[62:63], s[22:23]
	v_add_f64 v[44:45], v[46:47], v[44:45]
	v_fma_f64 v[46:47], v[64:65], s[8:9], -v[118:119]
	v_mul_f64 v[120:121], v[86:87], s[28:29]
	v_add_f64 v[46:47], v[2:3], v[46:47]
	v_fma_f64 v[48:49], v[84:85], s[20:21], -v[120:121]
	v_mul_f64 v[114:115], v[110:111], s[30:31]
	v_add_f64 v[46:47], v[48:49], v[46:47]
	v_fma_f64 v[48:49], s[26:27], v[88:89], v[114:115]
	v_mul_f64 v[124:125], v[104:105], s[30:31]
	s_mov_b32 s37, 0x3fefac9e
	s_mov_b32 s36, s24
	v_add_f64 v[44:45], v[48:49], v[44:45]
	v_fma_f64 v[48:49], v[94:95], s[26:27], -v[124:125]
	v_mul_f64 v[122:123], v[138:139], s[36:37]
	v_add_f64 v[46:47], v[48:49], v[46:47]
	v_fma_f64 v[48:49], s[18:19], v[98:99], v[122:123]
	v_mul_f64 v[134:135], v[126:127], s[36:37]
	s_mov_b32 s39, 0x3fe14ced
	s_mov_b32 s38, s10
	v_add_f64 v[44:45], v[48:49], v[44:45]
	v_fma_f64 v[48:49], v[102:103], s[18:19], -v[134:135]
	v_mul_f64 v[132:133], v[140:141], s[38:39]
	v_add_f64 v[46:47], v[48:49], v[46:47]
	v_fma_f64 v[48:49], s[0:1], v[112:113], v[132:133]
	v_mul_f64 v[136:137], v[142:143], s[38:39]
	v_add_f64 v[72:73], v[48:49], v[44:45]
	v_fma_f64 v[44:45], v[116:117], s[0:1], -v[136:137]
	v_add_f64 v[74:75], v[44:45], v[46:47]
	v_mul_lo_u16_e32 v129, 11, v212
	s_waitcnt lgkmcnt(0)
	; wave barrier
	s_and_saveexec_b64 s[16:17], s[4:5]
	s_cbranch_execz .LBB0_7
; %bb.6:
	v_mul_f64 v[152:153], v[64:65], s[26:27]
	v_mul_f64 v[148:149], v[84:85], s[0:1]
	v_fma_f64 v[154:155], s[30:31], v[62:63], v[152:153]
	v_mul_f64 v[160:161], v[80:81], s[34:35]
	v_fmac_f64_e32 v[152:153], s[34:35], v[62:63]
	v_mul_f64 v[144:145], v[94:95], s[20:21]
	s_mov_b32 s41, 0x3fe82f19
	s_mov_b32 s40, s28
	v_fma_f64 v[150:151], s[10:11], v[86:87], v[148:149]
	v_add_f64 v[154:155], v[2:3], v[154:155]
	v_mul_f64 v[156:157], v[96:97], s[38:39]
	v_fma_f64 v[162:163], s[26:27], v[58:59], v[160:161]
	v_fmac_f64_e32 v[148:149], s[38:39], v[86:87]
	v_add_f64 v[152:153], v[2:3], v[152:153]
	v_mul_f64 v[50:51], v[102:103], s[8:9]
	v_fma_f64 v[146:147], s[40:41], v[104:105], v[144:145]
	v_add_f64 v[150:151], v[150:151], v[154:155]
	s_mov_b32 s43, 0x3fed1bb4
	s_mov_b32 s42, s22
	v_mul_f64 v[154:155], v[110:111], s[28:29]
	v_fma_f64 v[158:159], s[0:1], v[76:77], v[156:157]
	v_add_f64 v[162:163], v[0:1], v[162:163]
	v_fmac_f64_e32 v[144:145], s[28:29], v[104:105]
	v_add_f64 v[148:149], v[148:149], v[152:153]
	v_mul_f64 v[48:49], v[116:117], s[18:19]
	v_fma_f64 v[46:47], s[22:23], v[126:127], v[50:51]
	v_add_f64 v[146:147], v[146:147], v[150:151]
	v_mul_f64 v[150:151], v[138:139], s[42:43]
	v_add_f64 v[158:159], v[158:159], v[162:163]
	v_fma_f64 v[162:163], s[20:21], v[88:89], v[154:155]
	v_fmac_f64_e32 v[50:51], s[42:43], v[126:127]
	v_add_f64 v[144:145], v[144:145], v[148:149]
	v_fma_f64 v[44:45], s[36:37], v[142:143], v[48:49]
	v_add_f64 v[46:47], v[46:47], v[146:147]
	v_mul_f64 v[146:147], v[140:141], s[24:25]
	v_add_f64 v[158:159], v[162:163], v[158:159]
	v_fma_f64 v[162:163], s[8:9], v[98:99], v[150:151]
	v_add_f64 v[50:51], v[50:51], v[144:145]
	v_fma_f64 v[144:145], v[98:99], s[8:9], -v[150:151]
	v_fma_f64 v[150:151], v[58:59], s[26:27], -v[160:161]
	v_add_f64 v[46:47], v[44:45], v[46:47]
	v_fma_f64 v[44:45], s[18:19], v[112:113], v[146:147]
	v_add_f64 v[158:159], v[162:163], v[158:159]
	v_fmac_f64_e32 v[48:49], s[24:25], v[142:143]
	v_fma_f64 v[148:149], v[76:77], s[0:1], -v[156:157]
	v_add_f64 v[150:151], v[0:1], v[150:151]
	v_mul_f64 v[156:157], v[64:65], s[20:21]
	v_add_f64 v[44:45], v[44:45], v[158:159]
	v_add_f64 v[50:51], v[48:49], v[50:51]
	v_fma_f64 v[48:49], v[112:113], s[18:19], -v[146:147]
	v_fma_f64 v[146:147], v[88:89], s[20:21], -v[154:155]
	v_add_f64 v[148:149], v[148:149], v[150:151]
	v_mul_f64 v[152:153], v[84:85], s[18:19]
	v_fma_f64 v[158:159], s[40:41], v[62:63], v[156:157]
	v_add_f64 v[146:147], v[146:147], v[148:149]
	v_mul_f64 v[150:151], v[94:95], s[0:1]
	v_fma_f64 v[154:155], s[24:25], v[86:87], v[152:153]
	v_add_f64 v[158:159], v[2:3], v[158:159]
	v_add_f64 v[144:145], v[144:145], v[146:147]
	v_mul_f64 v[148:149], v[102:103], s[26:27]
	v_fma_f64 v[146:147], s[38:39], v[104:105], v[150:151]
	v_add_f64 v[154:155], v[154:155], v[158:159]
	v_mul_f64 v[162:163], v[80:81], s[28:29]
	v_add_f64 v[48:49], v[48:49], v[144:145]
	v_fma_f64 v[144:145], s[30:31], v[126:127], v[148:149]
	v_add_f64 v[146:147], v[146:147], v[154:155]
	v_mul_f64 v[160:161], v[96:97], s[36:37]
	v_fma_f64 v[164:165], s[20:21], v[58:59], v[162:163]
	v_fmac_f64_e32 v[156:157], s[28:29], v[62:63]
	v_add_f64 v[144:145], v[144:145], v[146:147]
	v_mul_f64 v[158:159], v[110:111], s[10:11]
	v_fma_f64 v[146:147], s[18:19], v[76:77], v[160:161]
	v_add_f64 v[164:165], v[0:1], v[164:165]
	v_fmac_f64_e32 v[152:153], s[36:37], v[86:87]
	v_add_f64 v[156:157], v[2:3], v[156:157]
	v_mul_f64 v[154:155], v[138:139], s[34:35]
	v_add_f64 v[146:147], v[146:147], v[164:165]
	v_fma_f64 v[164:165], s[0:1], v[88:89], v[158:159]
	v_add_f64 v[152:153], v[152:153], v[156:157]
	v_fmac_f64_e32 v[150:151], s[10:11], v[104:105]
	v_add_f64 v[146:147], v[164:165], v[146:147]
	v_fma_f64 v[164:165], s[26:27], v[98:99], v[154:155]
	v_mul_f64 v[166:167], v[116:117], s[8:9]
	v_add_f64 v[150:151], v[150:151], v[152:153]
	v_fma_f64 v[152:153], v[98:99], s[26:27], -v[154:155]
	v_fma_f64 v[154:155], v[88:89], s[0:1], -v[158:159]
	;; [unrolled: 1-line block ×3, first 2 shown]
	v_add_f64 v[164:165], v[164:165], v[146:147]
	v_fma_f64 v[146:147], s[22:23], v[142:143], v[166:167]
	v_mul_f64 v[168:169], v[140:141], s[42:43]
	v_fma_f64 v[156:157], v[76:77], s[18:19], -v[160:161]
	v_add_f64 v[158:159], v[0:1], v[158:159]
	v_add_f64 v[146:147], v[146:147], v[144:145]
	v_fma_f64 v[144:145], s[8:9], v[112:113], v[168:169]
	v_add_f64 v[156:157], v[156:157], v[158:159]
	v_mul_f64 v[162:163], v[64:65], s[18:19]
	v_add_f64 v[144:145], v[144:145], v[164:165]
	v_fmac_f64_e32 v[148:149], s[34:35], v[126:127]
	v_add_f64 v[154:155], v[154:155], v[156:157]
	v_mul_f64 v[160:161], v[84:85], s[26:27]
	v_fma_f64 v[164:165], s[36:37], v[62:63], v[162:163]
	v_fmac_f64_e32 v[166:167], s[42:43], v[142:143]
	v_add_f64 v[148:149], v[148:149], v[150:151]
	v_add_f64 v[152:153], v[152:153], v[154:155]
	v_mul_f64 v[158:159], v[94:95], s[8:9]
	v_fma_f64 v[154:155], s[34:35], v[86:87], v[160:161]
	v_add_f64 v[164:165], v[2:3], v[164:165]
	v_add_f64 v[150:151], v[166:167], v[148:149]
	v_fma_f64 v[148:149], v[112:113], s[8:9], -v[168:169]
	v_mul_f64 v[156:157], v[102:103], s[0:1]
	v_add_f64 v[154:155], v[154:155], v[164:165]
	v_fma_f64 v[164:165], s[22:23], v[104:105], v[158:159]
	v_mul_f64 v[80:81], v[80:81], s[24:25]
	v_add_f64 v[148:149], v[148:149], v[152:153]
	v_fma_f64 v[152:153], s[38:39], v[126:127], v[156:157]
	v_add_f64 v[154:155], v[164:165], v[154:155]
	v_mul_f64 v[96:97], v[96:97], s[30:31]
	v_fma_f64 v[164:165], s[18:19], v[58:59], v[80:81]
	v_add_f64 v[152:153], v[152:153], v[154:155]
	v_mul_f64 v[110:111], v[110:111], s[42:43]
	;; [unrolled: 3-line block ×3, first 2 shown]
	v_add_f64 v[154:155], v[154:155], v[164:165]
	v_fma_f64 v[164:165], s[8:9], v[88:89], v[110:111]
	v_add_f64 v[154:155], v[164:165], v[154:155]
	v_fma_f64 v[164:165], s[0:1], v[98:99], v[138:139]
	v_mul_f64 v[166:167], v[116:117], s[20:21]
	v_fmac_f64_e32 v[162:163], s[24:25], v[62:63]
	v_add_f64 v[164:165], v[164:165], v[154:155]
	v_fma_f64 v[154:155], s[40:41], v[142:143], v[166:167]
	v_mul_f64 v[140:141], v[140:141], s[28:29]
	v_fmac_f64_e32 v[166:167], s[28:29], v[142:143]
	v_mul_f64 v[142:143], v[58:59], s[0:1]
	v_fmac_f64_e32 v[158:159], s[42:43], v[104:105]
	;; [unrolled: 2-line block ×3, first 2 shown]
	v_add_f64 v[62:63], v[2:3], v[162:163]
	v_fma_f64 v[58:59], v[58:59], s[18:19], -v[80:81]
	v_add_f64 v[154:155], v[154:155], v[152:153]
	v_fma_f64 v[152:153], s[20:21], v[112:113], v[140:141]
	v_mul_f64 v[168:169], v[76:77], s[8:9]
	v_add_f64 v[62:63], v[160:161], v[62:63]
	v_mul_f64 v[160:161], v[76:77], s[20:21]
	v_fma_f64 v[76:77], v[76:77], s[26:27], -v[96:97]
	v_add_f64 v[58:59], v[0:1], v[58:59]
	v_add_f64 v[152:153], v[152:153], v[164:165]
	v_fmac_f64_e32 v[156:157], s[10:11], v[126:127]
	v_mul_f64 v[126:127], v[64:65], s[0:1]
	v_mul_f64 v[164:165], v[64:65], s[8:9]
	v_fma_f64 v[64:65], v[88:89], s[8:9], -v[110:111]
	v_add_f64 v[58:59], v[76:77], v[58:59]
	v_mul_f64 v[80:81], v[102:103], s[20:21]
	v_fma_f64 v[96:97], v[98:99], s[0:1], -v[138:139]
	v_mul_f64 v[102:103], v[102:103], s[18:19]
	v_add_f64 v[58:59], v[64:65], v[58:59]
	v_mul_f64 v[170:171], v[84:85], s[8:9]
	v_mul_f64 v[84:85], v[84:85], s[20:21]
	v_add_f64 v[58:59], v[96:97], v[58:59]
	v_add_f64 v[96:97], v[134:135], v[102:103]
	;; [unrolled: 1-line block ×3, first 2 shown]
	v_mul_f64 v[86:87], v[94:95], s[26:27]
	v_add_f64 v[84:85], v[120:121], v[84:85]
	v_add_f64 v[102:103], v[2:3], v[102:103]
	;; [unrolled: 1-line block ×6, first 2 shown]
	v_mul_f64 v[110:111], v[116:117], s[26:27]
	v_fma_f64 v[138:139], v[112:113], s[20:21], -v[140:141]
	v_mul_f64 v[116:117], v[116:117], s[0:1]
	v_add_f64 v[84:85], v[86:87], v[84:85]
	v_mul_f64 v[156:157], v[94:95], s[18:19]
	v_mul_f64 v[94:95], v[98:99], s[20:21]
	v_mul_f64 v[98:99], v[98:99], s[18:19]
	v_add_f64 v[64:65], v[166:167], v[62:63]
	v_add_f64 v[62:63], v[138:139], v[58:59]
	;; [unrolled: 1-line block ×5, first 2 shown]
	v_add_f64 v[84:85], v[98:99], -v[122:123]
	v_add_f64 v[98:99], v[104:105], -v[106:107]
	v_add_f64 v[54:55], v[54:55], v[126:127]
	v_add_f64 v[52:53], v[142:143], -v[52:53]
	v_add_f64 v[98:99], v[0:1], v[98:99]
	v_add_f64 v[54:55], v[2:3], v[54:55]
	;; [unrolled: 1-line block ×11, first 2 shown]
	v_mul_f64 v[158:159], v[88:89], s[18:19]
	v_mul_f64 v[88:89], v[88:89], s[26:27]
	v_add_f64 v[96:97], v[160:161], -v[108:109]
	v_add_f64 v[2:3], v[22:23], v[2:3]
	v_add_f64 v[0:1], v[20:21], v[0:1]
	v_add_f64 v[88:89], v[88:89], -v[114:115]
	v_add_f64 v[96:97], v[96:97], v[98:99]
	v_add_f64 v[60:61], v[60:61], v[170:171]
	;; [unrolled: 1-line block ×4, first 2 shown]
	v_mul_f64 v[76:77], v[112:113], s[26:27]
	v_mul_f64 v[112:113], v[112:113], s[0:1]
	v_add_f64 v[88:89], v[88:89], v[96:97]
	v_add_f64 v[78:79], v[78:79], v[156:157]
	;; [unrolled: 1-line block ×3, first 2 shown]
	v_add_f64 v[56:57], v[168:169], -v[56:57]
	v_add_f64 v[2:3], v[30:31], v[2:3]
	v_add_f64 v[0:1], v[28:29], v[0:1]
	v_add_f64 v[58:59], v[112:113], -v[132:133]
	v_add_f64 v[84:85], v[84:85], v[88:89]
	v_add_f64 v[80:81], v[90:91], v[80:81]
	v_add_f64 v[54:55], v[78:79], v[54:55]
	v_add_f64 v[66:67], v[158:159], -v[66:67]
	v_add_f64 v[52:53], v[56:57], v[52:53]
	v_add_f64 v[2:3], v[34:35], v[2:3]
	;; [unrolled: 1-line block ×6, first 2 shown]
	v_add_f64 v[60:61], v[94:95], -v[82:83]
	v_add_f64 v[52:53], v[66:67], v[52:53]
	v_add_f64 v[2:3], v[38:39], v[2:3]
	;; [unrolled: 1-line block ×4, first 2 shown]
	v_add_f64 v[58:59], v[76:77], -v[92:93]
	v_add_f64 v[52:53], v[60:61], v[52:53]
	v_add_f64 v[2:3], v[42:43], v[2:3]
	;; [unrolled: 1-line block ×3, first 2 shown]
	v_lshlrev_b32_e32 v4, 4, v129
	v_add_f64 v[52:53], v[58:59], v[52:53]
	ds_write_b128 v4, v[0:3]
	ds_write_b128 v4, v[52:55] offset:16
	ds_write_b128 v4, v[84:87] offset:32
	;; [unrolled: 1-line block ×10, first 2 shown]
.LBB0_7:
	s_or_b64 exec, exec, s[16:17]
	s_movk_i32 s0, 0x75
	v_mul_lo_u16_sdwa v0, v212, s0 dst_sel:DWORD dst_unused:UNUSED_PAD src0_sel:BYTE_0 src1_sel:DWORD
	v_sub_u16_sdwa v1, v212, v0 dst_sel:DWORD dst_unused:UNUSED_PAD src0_sel:DWORD src1_sel:BYTE_1
	v_lshrrev_b16_e32 v1, 1, v1
	v_and_b32_e32 v1, 0x7f, v1
	v_add_u16_sdwa v0, v1, v0 dst_sel:DWORD dst_unused:UNUSED_PAD src0_sel:DWORD src1_sel:BYTE_1
	v_lshrrev_b16_e32 v120, 3, v0
	v_mul_lo_u16_e32 v0, 11, v120
	v_sub_u16_e32 v0, v212, v0
	v_and_b32_e32 v121, 0xff, v0
	v_lshlrev_b32_e32 v32, 7, v121
	s_load_dwordx4 s[8:11], s[2:3], 0x0
	s_waitcnt lgkmcnt(0)
	; wave barrier
	s_waitcnt lgkmcnt(0)
	global_load_dwordx4 v[12:15], v32, s[6:7]
	global_load_dwordx4 v[8:11], v32, s[6:7] offset:16
	global_load_dwordx4 v[4:7], v32, s[6:7] offset:32
	;; [unrolled: 1-line block ×7, first 2 shown]
	ds_read_b128 v[32:35], v128
	ds_read_b128 v[36:39], v128 offset:704
	ds_read_b128 v[40:43], v128 offset:1408
	;; [unrolled: 1-line block ×8, first 2 shown]
	s_mov_b32 s18, 0xa2cf5039
	s_mov_b32 s1, 0x3fe491b7
	s_mov_b32 s0, 0x523c161c
	s_mov_b32 s2, 0x8c811c17
	s_mov_b32 s19, 0x3fe8836f
	s_mov_b32 s22, 0x7e0b738b
	s_mov_b32 s3, 0x3fef838b
	s_mov_b32 s16, 0xe8584cab
	s_mov_b32 s23, 0x3fc63a1a
	s_mov_b32 s17, 0x3febb67a
	s_mov_b32 s20, 0x748a0bf8
	s_mov_b32 s24, 0x42522d1b
	s_mov_b32 s21, 0x3fd5e3a8
	s_mov_b32 s25, 0xbfee11f6
	s_mov_b32 s27, 0xbfebb67a
	s_mov_b32 s26, s16
	s_waitcnt lgkmcnt(0)
	; wave barrier
	s_waitcnt vmcnt(7) lgkmcnt(0)
	v_mul_f64 v[76:77], v[38:39], v[14:15]
	v_mul_f64 v[78:79], v[36:37], v[14:15]
	s_waitcnt vmcnt(5)
	v_mul_f64 v[86:87], v[44:45], v[6:7]
	v_mul_f64 v[80:81], v[42:43], v[10:11]
	;; [unrolled: 1-line block ×4, first 2 shown]
	s_waitcnt vmcnt(2)
	v_mul_f64 v[96:97], v[58:59], v[26:27]
	s_waitcnt vmcnt(0)
	v_mul_f64 v[104:105], v[66:67], v[18:19]
	v_mul_f64 v[106:107], v[64:65], v[18:19]
	;; [unrolled: 1-line block ×4, first 2 shown]
	v_fma_f64 v[36:37], v[36:37], v[12:13], -v[76:77]
	v_fmac_f64_e32 v[78:79], v[38:39], v[12:13]
	v_fmac_f64_e32 v[86:87], v[46:47], v[4:5]
	v_fma_f64 v[46:47], v[64:65], v[16:17], -v[104:105]
	v_fmac_f64_e32 v[106:107], v[66:67], v[16:17]
	v_mul_f64 v[92:93], v[54:55], v[30:31]
	v_mul_f64 v[98:99], v[56:57], v[26:27]
	v_fma_f64 v[38:39], v[40:41], v[8:9], -v[80:81]
	v_fmac_f64_e32 v[82:83], v[42:43], v[8:9]
	v_fma_f64 v[40:41], v[44:45], v[4:5], -v[84:85]
	v_fma_f64 v[42:43], v[56:57], v[24:25], -v[96:97]
	;; [unrolled: 1-line block ×3, first 2 shown]
	v_fmac_f64_e32 v[102:103], v[62:63], v[20:21]
	v_add_f64 v[62:63], v[78:79], v[106:107]
	v_add_f64 v[56:57], v[36:37], -v[46:47]
	v_mul_f64 v[88:89], v[50:51], v[2:3]
	v_mul_f64 v[90:91], v[48:49], v[2:3]
	;; [unrolled: 1-line block ×3, first 2 shown]
	v_fma_f64 v[80:81], v[52:53], v[28:29], -v[92:93]
	v_fmac_f64_e32 v[98:99], v[58:59], v[24:25]
	v_add_f64 v[60:61], v[36:37], v[46:47]
	v_add_f64 v[64:65], v[38:39], v[44:45]
	;; [unrolled: 1-line block ×4, first 2 shown]
	v_add_f64 v[58:59], v[78:79], -v[106:107]
	v_add_f64 v[78:79], v[38:39], -v[44:45]
	;; [unrolled: 1-line block ×3, first 2 shown]
	v_mul_f64 v[40:41], v[56:57], s[0:1]
	v_fma_f64 v[38:39], s[18:19], v[62:63], v[34:35]
	v_fma_f64 v[76:77], v[48:49], v[0:1], -v[88:89]
	v_fmac_f64_e32 v[90:91], v[50:51], v[0:1]
	v_fmac_f64_e32 v[94:95], v[54:55], v[28:29]
	v_add_f64 v[88:89], v[86:87], v[98:99]
	v_add_f64 v[82:83], v[82:83], -v[102:103]
	v_mul_f64 v[42:43], v[58:59], s[0:1]
	v_fma_f64 v[36:37], s[18:19], v[60:61], v[32:33]
	v_fmac_f64_e32 v[40:41], s[2:3], v[78:79]
	v_fmac_f64_e32 v[38:39], s[22:23], v[66:67]
	v_add_f64 v[86:87], v[86:87], -v[98:99]
	v_add_f64 v[96:97], v[76:77], -v[80:81]
	v_fmac_f64_e32 v[42:43], s[2:3], v[82:83]
	v_fmac_f64_e32 v[40:41], s[16:17], v[92:93]
	;; [unrolled: 1-line block ×3, first 2 shown]
	v_fmac_f64_e32 v[38:39], -0.5, v[88:89]
	v_add_f64 v[102:103], v[90:91], v[94:95]
	v_add_f64 v[98:99], v[90:91], -v[94:95]
	v_fmac_f64_e32 v[42:43], s[16:17], v[86:87]
	v_fmac_f64_e32 v[40:41], s[20:21], v[96:97]
	v_fmac_f64_e32 v[36:37], -0.5, v[84:85]
	v_add_f64 v[100:101], v[76:77], v[80:81]
	v_fmac_f64_e32 v[38:39], s[24:25], v[102:103]
	v_fmac_f64_e32 v[42:43], s[20:21], v[98:99]
	;; [unrolled: 1-line block ×3, first 2 shown]
	v_add_f64 v[38:39], v[38:39], -v[40:41]
	v_add_f64 v[36:37], v[42:43], v[36:37]
	v_mov_b64_e32 v[106:107], v[38:39]
	s_mov_b32 s1, 0xbfe491b7
	v_mov_b64_e32 v[104:105], v[36:37]
	v_fmac_f64_e32 v[106:107], 2.0, v[40:41]
	v_mul_f64 v[46:47], v[98:99], s[0:1]
	v_fma_f64 v[40:41], s[18:19], v[100:101], v[32:33]
	v_fmac_f64_e32 v[104:105], -2.0, v[42:43]
	v_mul_f64 v[48:49], v[96:97], s[0:1]
	v_fmac_f64_e32 v[46:47], s[2:3], v[58:59]
	v_fma_f64 v[42:43], s[18:19], v[102:103], v[34:35]
	v_fmac_f64_e32 v[40:41], s[22:23], v[60:61]
	v_fmac_f64_e32 v[48:49], s[2:3], v[56:57]
	;; [unrolled: 1-line block ×4, first 2 shown]
	v_fmac_f64_e32 v[40:41], -0.5, v[84:85]
	v_fmac_f64_e32 v[48:49], s[26:27], v[92:93]
	v_fmac_f64_e32 v[46:47], s[20:21], v[82:83]
	v_fmac_f64_e32 v[42:43], -0.5, v[88:89]
	v_fmac_f64_e32 v[40:41], s[24:25], v[64:65]
	v_fmac_f64_e32 v[48:49], s[20:21], v[78:79]
	v_fmac_f64_e32 v[42:43], s[24:25], v[66:67]
	v_add_f64 v[40:41], v[46:47], v[40:41]
	v_add_f64 v[42:43], v[42:43], -v[48:49]
	v_mov_b64_e32 v[44:45], v[40:41]
	v_fmac_f64_e32 v[44:45], -2.0, v[46:47]
	v_mov_b64_e32 v[46:47], v[42:43]
	v_fmac_f64_e32 v[46:47], 2.0, v[48:49]
	v_add_f64 v[48:49], v[96:97], v[56:57]
	v_add_f64 v[50:51], v[98:99], v[58:59]
	v_mul_f64 v[96:97], v[96:97], s[2:3]
	v_mul_f64 v[98:99], v[98:99], s[2:3]
	v_add_f64 v[52:53], v[48:49], -v[78:79]
	v_add_f64 v[54:55], v[50:51], -v[82:83]
	v_fma_f64 v[78:79], v[78:79], s[0:1], -v[96:97]
	v_fma_f64 v[82:83], v[82:83], s[0:1], -v[98:99]
	v_add_f64 v[112:113], v[64:65], v[60:61]
	v_add_f64 v[114:115], v[66:67], v[62:63]
	v_fmac_f64_e32 v[78:79], s[16:17], v[92:93]
	v_fmac_f64_e32 v[82:83], s[16:17], v[86:87]
	;; [unrolled: 1-line block ×4, first 2 shown]
	v_add_f64 v[56:57], v[84:85], v[112:113]
	v_add_f64 v[58:59], v[88:89], v[114:115]
	;; [unrolled: 1-line block ×10, first 2 shown]
	v_fmac_f64_e32 v[32:33], s[18:19], v[64:65]
	v_fmac_f64_e32 v[34:35], s[18:19], v[66:67]
	;; [unrolled: 1-line block ×4, first 2 shown]
	v_add_f64 v[116:117], v[100:101], v[112:113]
	v_add_f64 v[118:119], v[102:103], v[114:115]
	v_fmac_f64_e32 v[32:33], -0.5, v[84:85]
	v_fmac_f64_e32 v[34:35], -0.5, v[88:89]
	;; [unrolled: 1-line block ×4, first 2 shown]
	v_fmac_f64_e32 v[32:33], s[24:25], v[60:61]
	v_fmac_f64_e32 v[34:35], s[24:25], v[62:63]
	;; [unrolled: 1-line block ×4, first 2 shown]
	v_add_f64 v[32:33], v[82:83], v[32:33]
	v_add_f64 v[34:35], v[34:35], -v[78:79]
	v_mul_u32_u24_e32 v64, 0x63, v120
	v_mul_f64 v[108:109], v[52:53], s[16:17]
	v_mul_f64 v[110:111], v[54:55], s[16:17]
	v_mov_b64_e32 v[52:53], v[48:49]
	v_mov_b64_e32 v[54:55], v[50:51]
	;; [unrolled: 1-line block ×4, first 2 shown]
	v_add_lshl_u32 v213, v64, v121, 4
	v_fmac_f64_e32 v[52:53], -2.0, v[110:111]
	v_fmac_f64_e32 v[54:55], 2.0, v[108:109]
	v_fmac_f64_e32 v[60:61], -2.0, v[82:83]
	v_fmac_f64_e32 v[62:63], 2.0, v[78:79]
	ds_write_b128 v213, v[56:59]
	ds_write_b128 v213, v[36:39] offset:176
	ds_write_b128 v213, v[40:43] offset:352
	;; [unrolled: 1-line block ×8, first 2 shown]
	s_waitcnt lgkmcnt(0)
	; wave barrier
	s_waitcnt lgkmcnt(0)
	ds_read_b128 v[76:79], v128
	ds_read_b128 v[80:83], v128 offset:704
	ds_read_b128 v[100:103], v128 offset:1584
	;; [unrolled: 1-line block ×7, first 2 shown]
	v_cmp_gt_u16_e64 s[2:3], 11, v212
                                        ; implicit-def: $vgpr84_vgpr85
	s_and_saveexec_b64 s[0:1], s[2:3]
	s_cbranch_execz .LBB0_9
; %bb.8:
	ds_read_b128 v[104:107], v128 offset:1408
	ds_read_b128 v[72:75], v128 offset:2992
	;; [unrolled: 1-line block ×4, first 2 shown]
.LBB0_9:
	s_or_b64 exec, exec, s[0:1]
	v_mad_u64_u32 v[32:33], s[0:1], v212, 48, s[6:7]
	global_load_dwordx4 v[52:55], v[32:33], off offset:1408
	global_load_dwordx4 v[48:51], v[32:33], off offset:1424
	;; [unrolled: 1-line block ×6, first 2 shown]
	v_add_u32_e32 v32, 0x58, v212
	v_add_u32_e32 v33, -11, v212
	v_cndmask_b32_e64 v32, v33, v32, s[2:3]
	v_mul_hi_i32_i24_e32 v33, 48, v32
	v_mul_i32_i24_e32 v32, 48, v32
	v_lshl_add_u64 v[116:117], s[6:7], 0, v[32:33]
	global_load_dwordx4 v[36:39], v[116:117], off offset:1408
	global_load_dwordx4 v[40:43], v[116:117], off offset:1424
	;; [unrolled: 1-line block ×3, first 2 shown]
	s_waitcnt vmcnt(8) lgkmcnt(5)
	v_mul_f64 v[116:117], v[102:103], v[54:55]
	v_mul_f64 v[118:119], v[100:101], v[54:55]
	s_waitcnt vmcnt(7) lgkmcnt(3)
	v_mul_f64 v[120:121], v[110:111], v[50:51]
	v_mul_f64 v[122:123], v[108:109], v[50:51]
	;; [unrolled: 3-line block ×3, first 2 shown]
	s_waitcnt vmcnt(5)
	v_mul_f64 v[132:133], v[90:91], v[66:67]
	v_mul_f64 v[134:135], v[88:89], v[66:67]
	s_waitcnt vmcnt(4)
	v_mul_f64 v[136:137], v[94:95], v[62:63]
	v_mul_f64 v[138:139], v[92:93], v[62:63]
	s_waitcnt vmcnt(3) lgkmcnt(0)
	v_mul_f64 v[140:141], v[98:99], v[58:59]
	v_mul_f64 v[142:143], v[96:97], v[58:59]
	v_fma_f64 v[100:101], v[100:101], v[52:53], -v[116:117]
	v_fmac_f64_e32 v[118:119], v[102:103], v[52:53]
	v_fma_f64 v[102:103], v[108:109], v[48:49], -v[120:121]
	v_fmac_f64_e32 v[122:123], v[110:111], v[48:49]
	v_fma_f64 v[108:109], v[112:113], v[44:45], -v[124:125]
	v_fmac_f64_e32 v[126:127], v[114:115], v[44:45]
	v_fma_f64 v[88:89], v[88:89], v[64:65], -v[132:133]
	v_fmac_f64_e32 v[134:135], v[90:91], v[64:65]
	v_fma_f64 v[90:91], v[92:93], v[60:61], -v[136:137]
	v_fmac_f64_e32 v[138:139], v[94:95], v[60:61]
	v_fma_f64 v[92:93], v[96:97], v[56:57], -v[140:141]
	v_fmac_f64_e32 v[142:143], v[98:99], v[56:57]
	v_add_f64 v[94:95], v[76:77], -v[102:103]
	v_add_f64 v[102:103], v[78:79], -v[122:123]
	v_add_f64 v[96:97], v[100:101], -v[108:109]
	v_add_f64 v[98:99], v[118:119], -v[126:127]
	v_add_f64 v[90:91], v[80:81], -v[90:91]
	v_add_f64 v[108:109], v[82:83], -v[138:139]
	v_add_f64 v[92:93], v[88:89], -v[92:93]
	v_add_f64 v[110:111], v[134:135], -v[142:143]
	s_waitcnt vmcnt(2)
	v_mul_f64 v[112:113], v[74:75], v[38:39]
	s_waitcnt vmcnt(1)
	v_mul_f64 v[116:117], v[70:71], v[42:43]
	v_mul_f64 v[120:121], v[68:69], v[42:43]
	s_waitcnt vmcnt(0)
	v_mul_f64 v[122:123], v[86:87], v[34:35]
	v_mul_f64 v[114:115], v[72:73], v[38:39]
	;; [unrolled: 1-line block ×3, first 2 shown]
	v_fma_f64 v[126:127], v[76:77], 2.0, -v[94:95]
	v_fma_f64 v[132:133], v[78:79], 2.0, -v[102:103]
	;; [unrolled: 1-line block ×4, first 2 shown]
	v_add_f64 v[76:77], v[94:95], -v[98:99]
	v_add_f64 v[78:79], v[102:103], v[96:97]
	v_fma_f64 v[134:135], v[134:135], 2.0, -v[110:111]
	v_add_f64 v[96:97], v[90:91], -v[110:111]
	v_add_f64 v[98:99], v[108:109], v[92:93]
	v_fma_f64 v[110:111], v[72:73], v[36:37], -v[112:113]
	v_fma_f64 v[68:69], v[68:69], v[40:41], -v[116:117]
	v_fmac_f64_e32 v[120:121], v[70:71], v[40:41]
	v_fma_f64 v[70:71], v[84:85], v[32:33], -v[122:123]
	v_fma_f64 v[136:137], v[80:81], 2.0, -v[90:91]
	v_fma_f64 v[138:139], v[82:83], 2.0, -v[108:109]
	v_fmac_f64_e32 v[114:115], v[74:75], v[36:37]
	v_fmac_f64_e32 v[124:125], v[86:87], v[32:33]
	v_fma_f64 v[80:81], v[94:95], 2.0, -v[76:77]
	v_fma_f64 v[94:95], v[108:109], 2.0, -v[98:99]
	v_add_f64 v[108:109], v[104:105], -v[68:69]
	v_add_f64 v[70:71], v[110:111], -v[70:71]
	;; [unrolled: 1-line block ×3, first 2 shown]
	v_fma_f64 v[68:69], v[104:105], 2.0, -v[108:109]
	v_add_f64 v[116:117], v[114:115], -v[124:125]
	v_fma_f64 v[104:105], v[110:111], 2.0, -v[70:71]
	v_fma_f64 v[88:89], v[88:89], 2.0, -v[92:93]
	;; [unrolled: 1-line block ×4, first 2 shown]
	v_add_f64 v[120:121], v[68:69], -v[104:105]
	v_add_f64 v[84:85], v[126:127], -v[100:101]
	v_add_f64 v[86:87], v[132:133], -v[118:119]
	v_fma_f64 v[82:83], v[102:103], 2.0, -v[78:79]
	v_add_f64 v[100:101], v[136:137], -v[88:89]
	v_add_f64 v[102:103], v[138:139], -v[134:135]
	;; [unrolled: 1-line block ×3, first 2 shown]
	v_fma_f64 v[104:105], v[68:69], 2.0, -v[120:121]
	v_add_f64 v[68:69], v[108:109], -v[116:117]
	v_add_f64 v[70:71], v[112:113], v[70:71]
	v_fma_f64 v[92:93], v[90:91], 2.0, -v[96:97]
	v_fma_f64 v[72:73], v[126:127], 2.0, -v[84:85]
	;; [unrolled: 1-line block ×8, first 2 shown]
	ds_write_b128 v128, v[72:75]
	ds_write_b128 v128, v[80:83] offset:1584
	ds_write_b128 v128, v[84:87] offset:3168
	;; [unrolled: 1-line block ×7, first 2 shown]
	s_and_saveexec_b64 s[0:1], s[2:3]
	s_cbranch_execz .LBB0_11
; %bb.10:
	ds_write_b128 v128, v[104:107] offset:1408
	ds_write_b128 v128, v[116:119] offset:2992
	;; [unrolled: 1-line block ×4, first 2 shown]
.LBB0_11:
	s_or_b64 exec, exec, s[0:1]
	s_waitcnt lgkmcnt(0)
	; wave barrier
	s_waitcnt lgkmcnt(0)
	s_and_saveexec_b64 s[6:7], s[4:5]
	s_cbranch_execz .LBB0_13
; %bb.12:
	v_mov_b32_e32 v108, v129
	v_mov_b32_e32 v129, 0
	v_lshl_add_u64 v[132:133], s[12:13], 0, v[128:129]
	s_mov_b64 s[0:1], 0x18c0
	v_lshl_add_u64 v[134:135], v[132:133], 0, s[0:1]
	s_movk_i32 s0, 0x2000
	v_add_co_u32_e32 v136, vcc, 0x1000, v132
	v_add_co_u32_e64 v162, s[0:1], s0, v132
	v_mov_b32_e32 v129, v108
	global_load_dwordx4 v[108:111], v[134:135], off offset:576
	global_load_dwordx4 v[112:115], v[134:135], off offset:1152
	;; [unrolled: 1-line block ×6, first 2 shown]
	v_addc_co_u32_e64 v163, s[0:1], 0, v133, s[0:1]
	v_addc_co_u32_e32 v137, vcc, 0, v133, vcc
	global_load_dwordx4 v[150:153], v[162:163], off offset:2752
	global_load_dwordx4 v[154:157], v[162:163], off offset:3328
	;; [unrolled: 1-line block ×3, first 2 shown]
	s_nop 0
	global_load_dwordx4 v[132:135], v[134:135], off offset:4032
	s_nop 0
	global_load_dwordx4 v[162:165], v[162:163], off offset:3904
	ds_read_b128 v[166:169], v128
	ds_read_b128 v[170:173], v128 offset:576
	ds_read_b128 v[174:177], v128 offset:1152
	ds_read_b128 v[178:181], v128 offset:1728
	ds_read_b128 v[182:185], v128 offset:2304
	ds_read_b128 v[186:189], v128 offset:2880
	ds_read_b128 v[190:193], v128 offset:3456
	ds_read_b128 v[194:197], v128 offset:4032
	ds_read_b128 v[198:201], v128 offset:4608
	ds_read_b128 v[202:205], v128 offset:5184
	ds_read_b128 v[206:209], v128 offset:5760
	s_waitcnt vmcnt(10) lgkmcnt(9)
	v_mul_f64 v[210:211], v[172:173], v[110:111]
	v_mul_f64 v[216:217], v[170:171], v[110:111]
	s_waitcnt vmcnt(9) lgkmcnt(8)
	v_mul_f64 v[218:219], v[176:177], v[114:115]
	v_mul_f64 v[110:111], v[174:175], v[114:115]
	;; [unrolled: 3-line block ×6, first 2 shown]
	v_fma_f64 v[214:215], v[170:171], v[108:109], -v[210:211]
	v_fmac_f64_e32 v[216:217], v[172:173], v[108:109]
	v_fma_f64 v[108:109], v[174:175], v[112:113], -v[218:219]
	v_fmac_f64_e32 v[110:111], v[176:177], v[112:113]
	s_waitcnt vmcnt(4) lgkmcnt(2)
	v_mul_f64 v[228:229], v[200:201], v[152:153]
	v_mul_f64 v[136:137], v[198:199], v[152:153]
	v_fma_f64 v[112:113], v[178:179], v[124:125], -v[220:221]
	v_fmac_f64_e32 v[114:115], v[180:181], v[124:125]
	v_fma_f64 v[124:125], v[182:183], v[138:139], -v[222:223]
	v_fmac_f64_e32 v[126:127], v[184:185], v[138:139]
	;; [unrolled: 2-line block ×4, first 2 shown]
	ds_write_b128 v128, v[214:217] offset:576
	ds_write_b128 v128, v[108:111] offset:1152
	;; [unrolled: 1-line block ×6, first 2 shown]
	s_waitcnt vmcnt(0) lgkmcnt(6)
	v_mul_f64 v[108:109], v[208:209], v[164:165]
	v_mul_f64 v[110:111], v[206:207], v[164:165]
	;; [unrolled: 1-line block ×8, first 2 shown]
	v_fma_f64 v[134:135], v[198:199], v[150:151], -v[228:229]
	v_fmac_f64_e32 v[136:137], v[200:201], v[150:151]
	v_fma_f64 v[108:109], v[206:207], v[162:163], -v[108:109]
	v_fmac_f64_e32 v[110:111], v[208:209], v[162:163]
	v_fma_f64 v[146:147], v[202:203], v[154:155], -v[230:231]
	v_fmac_f64_e32 v[148:149], v[204:205], v[154:155]
	v_fma_f64 v[150:151], v[166:167], v[158:159], -v[232:233]
	v_fmac_f64_e32 v[152:153], v[168:169], v[158:159]
	v_fma_f64 v[154:155], v[194:195], v[132:133], -v[160:161]
	v_fmac_f64_e32 v[156:157], v[196:197], v[132:133]
	ds_write_b128 v128, v[134:137] offset:4608
	ds_write_b128 v128, v[146:149] offset:5184
	ds_write_b128 v128, v[150:153]
	ds_write_b128 v128, v[154:157] offset:4032
	ds_write_b128 v128, v[108:111] offset:5760
.LBB0_13:
	s_or_b64 exec, exec, s[6:7]
	s_waitcnt lgkmcnt(0)
	; wave barrier
	s_waitcnt lgkmcnt(0)
	s_and_saveexec_b64 s[0:1], s[4:5]
	s_cbranch_execz .LBB0_15
; %bb.14:
	ds_read_b128 v[72:75], v128
	ds_read_b128 v[80:83], v128 offset:576
	ds_read_b128 v[84:87], v128 offset:1152
	;; [unrolled: 1-line block ×10, first 2 shown]
.LBB0_15:
	s_or_b64 exec, exec, s[0:1]
	s_mov_b32 s18, 0xf8bb580b
	s_waitcnt lgkmcnt(0)
	v_add_f64 v[152:153], v[82:83], -v[122:123]
	s_mov_b32 s6, 0x8764f0ba
	s_mov_b32 s19, 0xbfe14ced
	v_add_f64 v[138:139], v[120:121], v[80:81]
	v_add_f64 v[144:145], v[122:123], v[82:83]
	s_mov_b32 s7, 0x3feaeb8c
	v_mul_f64 v[254:255], v[152:153], s[18:19]
	s_mov_b32 s16, 0xd9c712b6
	s_mov_b32 s23, 0xbfed1bb4
	;; [unrolled: 1-line block ×3, first 2 shown]
	v_add_f64 v[172:173], v[86:87], -v[118:119]
	v_add_f64 v[160:161], v[80:81], -v[120:121]
	v_mul_f64 v[134:135], v[144:145], s[6:7]
	v_fma_f64 v[108:109], v[138:139], s[6:7], -v[254:255]
	s_mov_b32 s17, 0x3fda9628
	v_add_f64 v[154:155], v[116:117], v[84:85]
	v_add_f64 v[162:163], v[118:119], v[86:87]
	v_mul_f64 v[136:137], v[172:173], s[22:23]
	v_add_f64 v[108:109], v[72:73], v[108:109]
	v_fma_f64 v[110:111], s[18:19], v[160:161], v[134:135]
	v_mul_f64 v[140:141], v[152:153], s[22:23]
	v_add_f64 v[180:181], v[84:85], -v[116:117]
	v_mul_f64 v[142:143], v[162:163], s[16:17]
	v_fma_f64 v[124:125], v[154:155], s[16:17], -v[136:137]
	s_mov_b32 s20, 0x7f775887
	v_add_f64 v[110:111], v[74:75], v[110:111]
	v_mul_f64 v[146:147], v[144:145], s[16:17]
	v_fma_f64 v[112:113], v[138:139], s[16:17], -v[140:141]
	v_add_f64 v[108:109], v[124:125], v[108:109]
	v_fma_f64 v[124:125], s[22:23], v[180:181], v[142:143]
	s_mov_b32 s21, 0xbfe4f49e
	v_mul_f64 v[150:151], v[172:173], s[28:29]
	s_mov_b32 s30, 0x43842ef
	v_add_f64 v[112:113], v[72:73], v[112:113]
	v_fma_f64 v[114:115], s[22:23], v[160:161], v[146:147]
	v_add_f64 v[110:111], v[124:125], v[110:111]
	v_mul_f64 v[158:159], v[162:163], s[20:21]
	v_fma_f64 v[124:125], v[154:155], s[20:21], -v[150:151]
	v_add_f64 v[186:187], v[78:79], -v[106:107]
	s_mov_b32 s24, 0x640f44db
	s_mov_b32 s31, 0xbfefac9e
	v_add_f64 v[114:115], v[74:75], v[114:115]
	v_add_f64 v[112:113], v[124:125], v[112:113]
	v_fma_f64 v[124:125], s[28:29], v[180:181], v[158:159]
	v_add_f64 v[166:167], v[76:77], v[104:105]
	v_add_f64 v[176:177], v[78:79], v[106:107]
	s_mov_b32 s25, 0xbfc2375f
	v_mul_f64 v[148:149], v[186:187], s[30:31]
	s_mov_b32 s34, 0xfd768dbf
	v_add_f64 v[114:115], v[124:125], v[114:115]
	v_add_f64 v[194:195], v[76:77], -v[104:105]
	v_mul_f64 v[156:157], v[176:177], s[24:25]
	v_fma_f64 v[124:125], v[166:167], s[24:25], -v[148:149]
	s_mov_b32 s26, 0x9bcd5057
	s_mov_b32 s35, 0x3fd207e7
	v_add_f64 v[108:109], v[124:125], v[108:109]
	v_fma_f64 v[124:125], s[30:31], v[194:195], v[156:157]
	s_mov_b32 s27, 0xbfeeb42a
	v_mul_f64 v[168:169], v[186:187], s[34:35]
	v_add_f64 v[110:111], v[124:125], v[110:111]
	v_mul_f64 v[178:179], v[176:177], s[26:27]
	v_fma_f64 v[124:125], v[166:167], s[26:27], -v[168:169]
	v_add_f64 v[202:203], v[90:91], -v[98:99]
	v_add_f64 v[112:113], v[124:125], v[112:113]
	v_fma_f64 v[124:125], s[34:35], v[194:195], v[178:179]
	v_add_f64 v[190:191], v[88:89], v[96:97]
	v_add_f64 v[196:197], v[90:91], v[98:99]
	v_mul_f64 v[164:165], v[202:203], s[28:29]
	v_add_f64 v[114:115], v[124:125], v[114:115]
	v_add_f64 v[206:207], v[88:89], -v[96:97]
	v_mul_f64 v[170:171], v[196:197], s[20:21]
	v_fma_f64 v[124:125], v[190:191], s[20:21], -v[164:165]
	s_mov_b32 s36, s30
	v_add_f64 v[108:109], v[124:125], v[108:109]
	v_fma_f64 v[124:125], s[28:29], v[206:207], v[170:171]
	v_mul_f64 v[182:183], v[202:203], s[36:37]
	v_add_f64 v[110:111], v[124:125], v[110:111]
	v_mul_f64 v[188:189], v[196:197], s[24:25]
	v_fma_f64 v[124:125], v[190:191], s[24:25], -v[182:183]
	v_add_f64 v[208:209], v[94:95], -v[102:103]
	s_mov_b32 s39, 0xbfd207e7
	s_mov_b32 s38, s34
	v_add_f64 v[124:125], v[124:125], v[112:113]
	v_fma_f64 v[112:113], s[36:37], v[206:207], v[188:189]
	v_add_f64 v[198:199], v[100:101], v[92:93]
	v_add_f64 v[204:205], v[102:103], v[94:95]
	v_mul_f64 v[174:175], v[208:209], s[38:39]
	v_add_f64 v[126:127], v[112:113], v[114:115]
	v_add_f64 v[210:211], v[92:93], -v[100:101]
	v_mul_f64 v[184:185], v[204:205], s[26:27]
	v_fma_f64 v[112:113], v[198:199], s[26:27], -v[174:175]
	s_mov_b32 s41, 0x3fe14ced
	s_mov_b32 s40, s18
	v_add_f64 v[112:113], v[112:113], v[108:109]
	v_fma_f64 v[108:109], s[38:39], v[210:211], v[184:185]
	v_mul_f64 v[192:193], v[208:209], s[40:41]
	v_mul_f64 v[200:201], v[204:205], s[6:7]
	v_add_f64 v[114:115], v[108:109], v[110:111]
	v_fma_f64 v[108:109], v[198:199], s[6:7], -v[192:193]
	v_fma_f64 v[110:111], s[40:41], v[210:211], v[200:201]
	v_add_f64 v[108:109], v[108:109], v[124:125]
	v_add_f64 v[110:111], v[110:111], v[126:127]
	s_waitcnt lgkmcnt(0)
	; wave barrier
	s_and_saveexec_b64 s[0:1], s[4:5]
	s_cbranch_execz .LBB0_17
; %bb.16:
	v_mul_f64 v[124:125], v[138:139], s[6:7]
	v_accvgpr_write_b32 a2, v124
	v_accvgpr_write_b32 a3, v125
	v_mul_f64 v[124:125], v[160:161], s[18:19]
	v_accvgpr_write_b32 a8, v124
	v_accvgpr_write_b32 a9, v125
	;; [unrolled: 3-line block ×13, first 2 shown]
	v_mul_f64 v[124:125], v[190:191], s[24:25]
	v_accvgpr_write_b32 a30, v124
	v_mul_f64 v[132:133], v[160:161], s[38:39]
	v_accvgpr_write_b32 a31, v125
	v_mul_f64 v[124:125], v[198:199], s[26:27]
	v_mul_f64 v[222:223], v[180:181], s[40:41]
	v_fma_f64 v[242:243], s[26:27], v[144:145], v[132:133]
	v_fma_f64 v[132:133], v[144:145], s[26:27], -v[132:133]
	v_accvgpr_write_b32 a14, v124
	s_mov_b32 s23, 0x3fed1bb4
	v_mul_f64 v[218:219], v[194:195], s[28:29]
	v_fma_f64 v[224:225], s[6:7], v[162:163], v[222:223]
	v_mul_f64 v[252:253], v[152:153], s[38:39]
	v_fma_f64 v[222:223], v[162:163], s[6:7], -v[222:223]
	v_add_f64 v[132:133], v[74:75], v[132:133]
	v_accvgpr_write_b32 a15, v125
	v_mul_f64 v[124:125], v[210:211], s[38:39]
	v_mul_f64 v[216:217], v[206:207], s[22:23]
	v_fma_f64 v[220:221], s[20:21], v[176:177], v[218:219]
	v_add_f64 v[242:243], v[74:75], v[242:243]
	v_mul_f64 v[244:245], v[172:173], s[40:41]
	v_fma_f64 v[230:231], v[138:139], s[26:27], -v[252:253]
	v_fma_f64 v[218:219], v[176:177], s[20:21], -v[218:219]
	v_add_f64 v[132:133], v[222:223], v[132:133]
	v_accvgpr_write_b32 a24, v124
	v_mul_f64 v[214:215], v[210:211], s[30:31]
	v_fma_f64 v[126:127], s[16:17], v[196:197], v[216:217]
	v_add_f64 v[224:225], v[224:225], v[242:243]
	v_mul_f64 v[250:251], v[186:187], s[28:29]
	v_fma_f64 v[234:235], v[154:155], s[6:7], -v[244:245]
	v_add_f64 v[230:231], v[72:73], v[230:231]
	v_fma_f64 v[216:217], v[196:197], s[16:17], -v[216:217]
	v_add_f64 v[132:133], v[218:219], v[132:133]
	v_accvgpr_write_b32 a25, v125
	v_fma_f64 v[124:125], s[24:25], v[204:205], v[214:215]
	v_add_f64 v[220:221], v[220:221], v[224:225]
	v_mul_f64 v[224:225], v[202:203], s[22:23]
	v_fma_f64 v[236:237], v[166:167], s[20:21], -v[250:251]
	v_add_f64 v[230:231], v[234:235], v[230:231]
	v_fma_f64 v[214:215], v[204:205], s[24:25], -v[214:215]
	v_add_f64 v[132:133], v[216:217], v[132:133]
	v_fmac_f64_e32 v[252:253], s[26:27], v[138:139]
	v_fma_f64 v[242:243], v[190:191], s[16:17], -v[224:225]
	v_add_f64 v[230:231], v[236:237], v[230:231]
	v_add_f64 v[216:217], v[214:215], v[132:133]
	v_fmac_f64_e32 v[244:245], s[6:7], v[154:155]
	v_add_f64 v[132:133], v[72:73], v[252:253]
	v_add_f64 v[230:231], v[242:243], v[230:231]
	v_fmac_f64_e32 v[250:251], s[20:21], v[166:167]
	v_add_f64 v[132:133], v[244:245], v[132:133]
	v_mul_f64 v[242:243], v[160:161], s[28:29]
	v_add_f64 v[126:127], v[126:127], v[220:221]
	v_mul_f64 v[220:221], v[208:209], s[30:31]
	v_fmac_f64_e32 v[224:225], s[16:17], v[190:191]
	v_add_f64 v[132:133], v[250:251], v[132:133]
	v_mul_f64 v[234:235], v[180:181], s[36:37]
	v_fma_f64 v[244:245], s[20:21], v[144:145], v[242:243]
	v_mul_f64 v[232:233], v[152:153], s[28:29]
	v_add_f64 v[126:127], v[124:125], v[126:127]
	v_fma_f64 v[124:125], v[198:199], s[24:25], -v[220:221]
	v_add_f64 v[132:133], v[224:225], v[132:133]
	v_mul_f64 v[224:225], v[194:195], s[18:19]
	v_fma_f64 v[236:237], s[24:25], v[162:163], v[234:235]
	v_add_f64 v[244:245], v[74:75], v[244:245]
	v_mul_f64 v[238:239], v[172:173], s[36:37]
	v_fma_f64 v[240:241], v[138:139], s[20:21], -v[232:233]
	v_add_f64 v[124:125], v[124:125], v[230:231]
	v_fmac_f64_e32 v[220:221], s[24:25], v[198:199]
	v_mul_f64 v[222:223], v[206:207], s[38:39]
	v_fma_f64 v[230:231], s[6:7], v[176:177], v[224:225]
	v_add_f64 v[236:237], v[236:237], v[244:245]
	v_mul_f64 v[250:251], v[186:187], s[18:19]
	v_fma_f64 v[246:247], v[154:155], s[24:25], -v[238:239]
	v_add_f64 v[240:241], v[72:73], v[240:241]
	v_add_f64 v[214:215], v[220:221], v[132:133]
	v_mul_f64 v[132:133], v[210:211], s[22:23]
	v_fma_f64 v[220:221], s[26:27], v[196:197], v[222:223]
	v_add_f64 v[230:231], v[230:231], v[236:237]
	v_mul_f64 v[236:237], v[202:203], s[38:39]
	v_fma_f64 v[252:253], v[166:167], s[6:7], -v[250:251]
	v_add_f64 v[240:241], v[246:247], v[240:241]
	v_fma_f64 v[218:219], s[16:17], v[204:205], v[132:133]
	v_add_f64 v[220:221], v[220:221], v[230:231]
	v_mul_f64 v[230:231], v[208:209], s[22:23]
	v_fma_f64 v[244:245], v[190:191], s[26:27], -v[236:237]
	v_add_f64 v[240:241], v[252:253], v[240:241]
	v_add_f64 v[220:221], v[218:219], v[220:221]
	v_fma_f64 v[218:219], v[198:199], s[16:17], -v[230:231]
	v_add_f64 v[240:241], v[244:245], v[240:241]
	v_add_f64 v[218:219], v[218:219], v[240:241]
	v_fma_f64 v[240:241], v[144:145], s[20:21], -v[242:243]
	v_fma_f64 v[234:235], v[162:163], s[24:25], -v[234:235]
	v_add_f64 v[240:241], v[74:75], v[240:241]
	v_fma_f64 v[224:225], v[176:177], s[6:7], -v[224:225]
	v_add_f64 v[234:235], v[234:235], v[240:241]
	;; [unrolled: 2-line block ×4, first 2 shown]
	v_fmac_f64_e32 v[232:233], s[20:21], v[138:139]
	v_add_f64 v[224:225], v[132:133], v[222:223]
	v_fmac_f64_e32 v[238:239], s[24:25], v[154:155]
	v_add_f64 v[132:133], v[72:73], v[232:233]
	;; [unrolled: 2-line block ×4, first 2 shown]
	v_mul_f64 v[160:161], v[160:161], s[30:31]
	v_add_f64 v[132:133], v[236:237], v[132:133]
	v_mul_f64 v[180:181], v[180:181], s[34:35]
	v_fma_f64 v[236:237], s[24:25], v[144:145], v[160:161]
	v_fma_f64 v[144:145], v[144:145], s[24:25], -v[160:161]
	v_mul_f64 v[248:249], v[194:195], s[34:35]
	v_mul_f64 v[194:195], v[194:195], s[22:23]
	v_fma_f64 v[234:235], s[26:27], v[162:163], v[180:181]
	v_fma_f64 v[162:163], v[162:163], s[26:27], -v[180:181]
	v_add_f64 v[144:145], v[74:75], v[144:145]
	v_mul_f64 v[226:227], v[206:207], s[36:37]
	v_fmac_f64_e32 v[230:231], s[16:17], v[198:199]
	v_mul_f64 v[206:207], v[206:207], s[18:19]
	v_fma_f64 v[232:233], s[16:17], v[176:177], v[194:195]
	v_fma_f64 v[176:177], v[176:177], s[16:17], -v[194:195]
	v_add_f64 v[144:145], v[162:163], v[144:145]
	v_add_f64 v[222:223], v[230:231], v[132:133]
	v_mul_f64 v[132:133], v[210:211], s[28:29]
	v_fma_f64 v[230:231], s[6:7], v[196:197], v[206:207]
	v_mul_f64 v[152:153], v[152:153], s[30:31]
	v_fma_f64 v[196:197], v[196:197], s[6:7], -v[206:207]
	v_add_f64 v[144:145], v[176:177], v[144:145]
	v_accvgpr_write_b32 a0, v130
	v_mul_f64 v[130:131], v[210:211], s[40:41]
	v_fma_f64 v[210:211], s[20:21], v[204:205], v[132:133]
	v_fma_f64 v[238:239], v[138:139], s[24:25], -v[152:153]
	v_fma_f64 v[132:133], v[204:205], s[20:21], -v[132:133]
	v_add_f64 v[144:145], v[196:197], v[144:145]
	v_fmac_f64_e32 v[152:153], s[24:25], v[138:139]
	v_add_f64 v[162:163], v[132:133], v[144:145]
	v_add_f64 v[132:133], v[72:73], v[152:153]
	v_accvgpr_read_b32 v153, a29
	v_accvgpr_read_b32 v145, a33
	;; [unrolled: 1-line block ×3, first 2 shown]
	v_add_f64 v[236:237], v[74:75], v[236:237]
	v_accvgpr_read_b32 v144, a32
	v_add_f64 v[146:147], v[146:147], -v[152:153]
	v_add_f64 v[234:235], v[234:235], v[236:237]
	v_mul_f64 v[172:173], v[172:173], s[34:35]
	v_add_f64 v[144:145], v[158:159], -v[144:145]
	v_add_f64 v[146:147], v[74:75], v[146:147]
	v_add_f64 v[232:233], v[232:233], v[234:235]
	v_mul_f64 v[186:187], v[186:187], s[22:23]
	v_fma_f64 v[236:237], v[154:155], s[26:27], -v[172:173]
	v_fmac_f64_e32 v[172:173], s[26:27], v[154:155]
	v_add_f64 v[138:139], v[178:179], -v[248:249]
	v_add_f64 v[144:145], v[144:145], v[146:147]
	v_add_f64 v[230:231], v[230:231], v[232:233]
	v_mul_f64 v[202:203], v[202:203], s[18:19]
	v_fma_f64 v[234:235], v[166:167], s[16:17], -v[186:187]
	v_fmac_f64_e32 v[186:187], s[16:17], v[166:167]
	v_add_f64 v[132:133], v[172:173], v[132:133]
	v_add_f64 v[138:139], v[138:139], v[144:145]
	v_accvgpr_read_b32 v145, a23
	v_add_f64 v[210:211], v[210:211], v[230:231]
	v_mul_f64 v[230:231], v[208:209], s[28:29]
	v_fma_f64 v[232:233], v[190:191], s[6:7], -v[202:203]
	v_fmac_f64_e32 v[202:203], s[6:7], v[190:191]
	v_add_f64 v[132:133], v[186:187], v[132:133]
	v_accvgpr_read_b32 v144, a22
	v_fma_f64 v[208:209], v[198:199], s[20:21], -v[230:231]
	v_fmac_f64_e32 v[230:231], s[20:21], v[198:199]
	v_add_f64 v[132:133], v[202:203], v[132:133]
	v_add_f64 v[144:145], v[144:145], v[150:151]
	v_accvgpr_read_b32 v151, a19
	v_add_f64 v[160:161], v[230:231], v[132:133]
	v_add_f64 v[132:133], v[188:189], -v[226:227]
	v_accvgpr_read_b32 v150, a18
	v_add_f64 v[132:133], v[132:133], v[138:139]
	v_accvgpr_read_b32 v139, a27
	v_add_f64 v[140:141], v[150:151], v[140:141]
	;; [unrolled: 2-line block ×3, first 2 shown]
	v_add_f64 v[138:139], v[138:139], v[168:169]
	v_add_f64 v[140:141], v[144:145], v[140:141]
	;; [unrolled: 1-line block ×3, first 2 shown]
	v_accvgpr_read_b32 v141, a13
	v_accvgpr_read_b32 v140, a12
	v_add_f64 v[140:141], v[142:143], -v[140:141]
	v_accvgpr_read_b32 v143, a9
	v_accvgpr_read_b32 v142, a8
	v_add_f64 v[134:135], v[134:135], -v[142:143]
	v_add_f64 v[134:135], v[74:75], v[134:135]
	v_add_f64 v[134:135], v[140:141], v[134:135]
	v_accvgpr_read_b32 v141, a5
	v_add_f64 v[130:131], v[200:201], -v[130:131]
	v_accvgpr_read_b32 v140, a4
	v_add_f64 v[146:147], v[130:131], v[132:133]
	v_accvgpr_read_b32 v133, a31
	v_add_f64 v[136:137], v[140:141], v[136:137]
	v_accvgpr_read_b32 v141, a3
	v_accvgpr_read_b32 v132, a30
	v_accvgpr_read_b32 v140, a2
	v_mul_f64 v[228:229], v[198:199], s[6:7]
	v_add_f64 v[132:133], v[132:133], v[182:183]
	v_add_f64 v[140:141], v[140:141], v[254:255]
	;; [unrolled: 1-line block ×5, first 2 shown]
	v_accvgpr_read_b32 v139, a17
	v_add_f64 v[140:141], v[72:73], v[140:141]
	v_add_f64 v[74:75], v[74:75], v[82:83]
	;; [unrolled: 1-line block ×4, first 2 shown]
	v_accvgpr_read_b32 v133, a21
	v_accvgpr_read_b32 v138, a16
	v_add_f64 v[74:75], v[86:87], v[74:75]
	v_add_f64 v[72:73], v[84:85], v[72:73]
	v_accvgpr_read_b32 v131, a25
	v_accvgpr_read_b32 v132, a20
	v_add_f64 v[138:139], v[156:157], -v[138:139]
	v_add_f64 v[74:75], v[78:79], v[74:75]
	v_add_f64 v[72:73], v[76:77], v[72:73]
	v_accvgpr_read_b32 v130, a24
	v_add_f64 v[132:133], v[170:171], -v[132:133]
	v_add_f64 v[134:135], v[138:139], v[134:135]
	v_add_f64 v[74:75], v[90:91], v[74:75]
	;; [unrolled: 1-line block ×3, first 2 shown]
	v_add_f64 v[130:131], v[184:185], -v[130:131]
	v_add_f64 v[132:133], v[132:133], v[134:135]
	v_accvgpr_read_b32 v139, a7
	v_add_f64 v[74:75], v[94:95], v[74:75]
	v_add_f64 v[72:73], v[92:93], v[72:73]
	;; [unrolled: 1-line block ×3, first 2 shown]
	v_accvgpr_read_b32 v133, a11
	v_accvgpr_read_b32 v138, a6
	v_add_f64 v[74:75], v[102:103], v[74:75]
	v_add_f64 v[72:73], v[100:101], v[72:73]
	v_accvgpr_read_b32 v131, a15
	v_accvgpr_read_b32 v132, a10
	v_add_f64 v[138:139], v[138:139], v[148:149]
	v_add_f64 v[136:137], v[136:137], v[140:141]
	v_add_f64 v[74:75], v[98:99], v[74:75]
	v_add_f64 v[72:73], v[96:97], v[72:73]
	v_add_f64 v[236:237], v[236:237], v[238:239]
	v_accvgpr_read_b32 v130, a14
	v_add_f64 v[132:133], v[132:133], v[164:165]
	v_add_f64 v[136:137], v[138:139], v[136:137]
	;; [unrolled: 1-line block ×11, first 2 shown]
	v_accvgpr_read_b32 v130, a0
	v_add_f64 v[74:75], v[122:123], v[74:75]
	v_add_f64 v[72:73], v[120:121], v[72:73]
	v_lshlrev_b32_e32 v76, 4, v129
	v_add_f64 v[208:209], v[208:209], v[232:233]
	ds_write_b128 v76, v[72:75]
	ds_write_b128 v76, v[132:135] offset:16
	ds_write_b128 v76, v[144:147] offset:32
	;; [unrolled: 1-line block ×10, first 2 shown]
.LBB0_17:
	s_or_b64 exec, exec, s[0:1]
	s_waitcnt lgkmcnt(0)
	; wave barrier
	s_waitcnt lgkmcnt(0)
	ds_read_b128 v[72:75], v128
	ds_read_b128 v[76:79], v128 offset:704
	ds_read_b128 v[80:83], v128 offset:1408
	;; [unrolled: 1-line block ×8, first 2 shown]
	s_waitcnt lgkmcnt(7)
	v_mul_f64 v[116:117], v[14:15], v[78:79]
	v_mul_f64 v[14:15], v[14:15], v[76:77]
	v_fmac_f64_e32 v[116:117], v[12:13], v[76:77]
	v_fma_f64 v[12:13], v[12:13], v[78:79], -v[14:15]
	s_waitcnt lgkmcnt(6)
	v_mul_f64 v[14:15], v[10:11], v[82:83]
	v_mul_f64 v[10:11], v[10:11], v[80:81]
	v_fmac_f64_e32 v[14:15], v[8:9], v[80:81]
	v_fma_f64 v[8:9], v[8:9], v[82:83], -v[10:11]
	;; [unrolled: 5-line block ×3, first 2 shown]
	s_waitcnt lgkmcnt(4)
	v_mul_f64 v[76:77], v[2:3], v[90:91]
	v_mul_f64 v[2:3], v[2:3], v[88:89]
	s_waitcnt lgkmcnt(1)
	v_mul_f64 v[6:7], v[22:23], v[102:103]
	v_mul_f64 v[22:23], v[22:23], v[100:101]
	v_fmac_f64_e32 v[76:77], v[0:1], v[88:89]
	v_fma_f64 v[78:79], v[0:1], v[90:91], -v[2:3]
	v_mul_f64 v[80:81], v[30:31], v[94:95]
	v_mul_f64 v[0:1], v[30:31], v[92:93]
	v_fmac_f64_e32 v[6:7], v[20:21], v[100:101]
	v_fma_f64 v[20:21], v[20:21], v[102:103], -v[22:23]
	s_waitcnt lgkmcnt(0)
	v_mul_f64 v[22:23], v[18:19], v[106:107]
	v_mul_f64 v[18:19], v[18:19], v[104:105]
	v_fmac_f64_e32 v[80:81], v[28:29], v[92:93]
	v_fma_f64 v[28:29], v[28:29], v[94:95], -v[0:1]
	v_mul_f64 v[0:1], v[26:27], v[98:99]
	v_mul_f64 v[2:3], v[26:27], v[96:97]
	v_fmac_f64_e32 v[22:23], v[16:17], v[104:105]
	v_fma_f64 v[16:17], v[16:17], v[106:107], -v[18:19]
	s_mov_b32 s18, 0xa2cf5039
	v_fmac_f64_e32 v[0:1], v[24:25], v[96:97]
	v_fma_f64 v[2:3], v[24:25], v[98:99], -v[2:3]
	v_add_f64 v[30:31], v[116:117], v[22:23]
	v_add_f64 v[26:27], v[12:13], -v[16:17]
	s_mov_b32 s1, 0x3fe491b7
	s_mov_b32 s0, 0x523c161c
	;; [unrolled: 1-line block ×5, first 2 shown]
	v_add_f64 v[82:83], v[12:13], v[16:17]
	v_add_f64 v[84:85], v[14:15], v[6:7]
	v_add_f64 v[88:89], v[10:11], v[0:1]
	v_add_f64 v[90:91], v[4:5], v[2:3]
	v_add_f64 v[24:25], v[116:117], -v[22:23]
	v_add_f64 v[94:95], v[8:9], -v[20:21]
	;; [unrolled: 1-line block ×4, first 2 shown]
	v_mul_f64 v[2:3], v[26:27], s[0:1]
	s_mov_b32 s7, 0x3fef838b
	s_mov_b32 s16, 0xe8584cab
	v_fma_f64 v[0:1], s[18:19], v[30:31], v[72:73]
	s_mov_b32 s21, 0x3fc63a1a
	v_add_f64 v[86:87], v[8:9], v[20:21]
	v_add_f64 v[92:93], v[14:15], -v[6:7]
	v_mul_f64 v[8:9], v[24:25], s[0:1]
	v_fmac_f64_e32 v[2:3], s[6:7], v[94:95]
	s_mov_b32 s17, 0x3febb67a
	s_mov_b32 s22, 0x748a0bf8
	v_fma_f64 v[6:7], s[18:19], v[82:83], v[74:75]
	v_fmac_f64_e32 v[0:1], s[20:21], v[84:85]
	s_mov_b32 s24, 0x42522d1b
	v_fmac_f64_e32 v[8:9], s[6:7], v[92:93]
	v_fmac_f64_e32 v[2:3], s[16:17], v[98:99]
	v_add_f64 v[102:103], v[78:79], -v[28:29]
	s_mov_b32 s23, 0x3fd5e3a8
	v_fmac_f64_e32 v[6:7], s[20:21], v[86:87]
	v_fmac_f64_e32 v[0:1], -0.5, v[88:89]
	v_add_f64 v[104:105], v[76:77], v[80:81]
	s_mov_b32 s25, 0xbfee11f6
	v_fmac_f64_e32 v[8:9], s[16:17], v[96:97]
	v_add_f64 v[100:101], v[76:77], -v[80:81]
	v_fmac_f64_e32 v[2:3], s[22:23], v[102:103]
	v_fmac_f64_e32 v[6:7], -0.5, v[90:91]
	v_add_f64 v[106:107], v[78:79], v[28:29]
	v_fmac_f64_e32 v[0:1], s[24:25], v[104:105]
	v_fmac_f64_e32 v[8:9], s[22:23], v[100:101]
	;; [unrolled: 1-line block ×3, first 2 shown]
	v_add_f64 v[4:5], v[0:1], -v[2:3]
	v_add_f64 v[6:7], v[8:9], v[6:7]
	v_mov_b64_e32 v[0:1], v[4:5]
	v_fmac_f64_e32 v[0:1], 2.0, v[2:3]
	v_mov_b64_e32 v[2:3], v[6:7]
	s_mov_b32 s1, 0xbfe491b7
	v_fmac_f64_e32 v[2:3], -2.0, v[8:9]
	v_mul_f64 v[14:15], v[102:103], s[0:1]
	v_fma_f64 v[8:9], s[18:19], v[104:105], v[72:73]
	v_mul_f64 v[16:17], v[100:101], s[0:1]
	v_fmac_f64_e32 v[14:15], s[6:7], v[26:27]
	s_mov_b32 s27, 0xbfebb67a
	s_mov_b32 s26, s16
	v_fma_f64 v[10:11], s[18:19], v[106:107], v[74:75]
	v_fmac_f64_e32 v[8:9], s[20:21], v[30:31]
	v_fmac_f64_e32 v[16:17], s[6:7], v[24:25]
	;; [unrolled: 1-line block ×4, first 2 shown]
	v_fmac_f64_e32 v[8:9], -0.5, v[88:89]
	v_fmac_f64_e32 v[16:17], s[26:27], v[96:97]
	v_fmac_f64_e32 v[14:15], s[22:23], v[94:95]
	v_fmac_f64_e32 v[10:11], -0.5, v[90:91]
	v_fmac_f64_e32 v[8:9], s[24:25], v[84:85]
	v_fmac_f64_e32 v[16:17], s[22:23], v[92:93]
	;; [unrolled: 1-line block ×3, first 2 shown]
	v_add_f64 v[8:9], v[8:9], -v[14:15]
	v_add_f64 v[10:11], v[16:17], v[10:11]
	v_mov_b64_e32 v[12:13], v[8:9]
	v_fmac_f64_e32 v[12:13], 2.0, v[14:15]
	v_mov_b64_e32 v[14:15], v[10:11]
	v_fmac_f64_e32 v[14:15], -2.0, v[16:17]
	v_add_f64 v[16:17], v[100:101], v[24:25]
	v_add_f64 v[18:19], v[102:103], v[26:27]
	v_mul_f64 v[100:101], v[100:101], s[6:7]
	v_mul_f64 v[102:103], v[102:103], s[6:7]
	v_add_f64 v[20:21], v[16:17], -v[92:93]
	v_add_f64 v[22:23], v[18:19], -v[94:95]
	v_fma_f64 v[92:93], v[92:93], s[0:1], -v[100:101]
	v_fma_f64 v[94:95], v[94:95], s[0:1], -v[102:103]
	v_add_f64 v[120:121], v[84:85], v[30:31]
	v_add_f64 v[122:123], v[86:87], v[82:83]
	v_fmac_f64_e32 v[92:93], s[16:17], v[96:97]
	v_fmac_f64_e32 v[94:95], s[16:17], v[98:99]
	;; [unrolled: 1-line block ×4, first 2 shown]
	v_add_f64 v[24:25], v[88:89], v[120:121]
	v_add_f64 v[26:27], v[90:91], v[122:123]
	;; [unrolled: 1-line block ×10, first 2 shown]
	v_fmac_f64_e32 v[72:73], s[18:19], v[84:85]
	v_fmac_f64_e32 v[74:75], s[18:19], v[86:87]
	;; [unrolled: 1-line block ×4, first 2 shown]
	v_add_f64 v[124:125], v[104:105], v[120:121]
	v_add_f64 v[126:127], v[106:107], v[122:123]
	v_fmac_f64_e32 v[72:73], -0.5, v[88:89]
	v_fmac_f64_e32 v[74:75], -0.5, v[90:91]
	;; [unrolled: 1-line block ×4, first 2 shown]
	v_fmac_f64_e32 v[72:73], s[24:25], v[30:31]
	v_fmac_f64_e32 v[74:75], s[24:25], v[82:83]
	;; [unrolled: 1-line block ×4, first 2 shown]
	v_add_f64 v[28:29], v[72:73], -v[94:95]
	v_add_f64 v[30:31], v[92:93], v[74:75]
	v_mul_f64 v[116:117], v[20:21], s[16:17]
	v_mul_f64 v[118:119], v[22:23], s[16:17]
	v_mov_b64_e32 v[20:21], v[16:17]
	v_mov_b64_e32 v[22:23], v[18:19]
	;; [unrolled: 1-line block ×4, first 2 shown]
	v_fmac_f64_e32 v[20:21], 2.0, v[118:119]
	v_fmac_f64_e32 v[22:23], -2.0, v[116:117]
	v_fmac_f64_e32 v[72:73], 2.0, v[94:95]
	v_fmac_f64_e32 v[74:75], -2.0, v[92:93]
	s_waitcnt lgkmcnt(0)
	; wave barrier
	ds_write_b128 v213, v[24:27]
	ds_write_b128 v213, v[4:7] offset:176
	ds_write_b128 v213, v[8:11] offset:352
	;; [unrolled: 1-line block ×8, first 2 shown]
	s_waitcnt lgkmcnt(0)
	; wave barrier
	s_waitcnt lgkmcnt(0)
	ds_read_b128 v[8:11], v128
	ds_read_b128 v[4:7], v128 offset:704
	ds_read_b128 v[72:75], v128 offset:1584
	;; [unrolled: 1-line block ×7, first 2 shown]
	s_and_saveexec_b64 s[0:1], s[2:3]
	s_cbranch_execz .LBB0_19
; %bb.18:
	ds_read_b128 v[0:3], v128 offset:1408
	ds_read_b128 v[108:111], v128 offset:2992
	;; [unrolled: 1-line block ×4, first 2 shown]
.LBB0_19:
	s_or_b64 exec, exec, s[0:1]
	s_waitcnt lgkmcnt(5)
	v_mul_f64 v[76:77], v[54:55], v[74:75]
	v_mul_f64 v[54:55], v[54:55], v[72:73]
	v_fmac_f64_e32 v[76:77], v[52:53], v[72:73]
	v_fma_f64 v[52:53], v[52:53], v[74:75], -v[54:55]
	s_waitcnt lgkmcnt(3)
	v_mul_f64 v[54:55], v[50:51], v[30:31]
	v_fmac_f64_e32 v[54:55], v[48:49], v[28:29]
	v_mul_f64 v[28:29], v[50:51], v[28:29]
	v_fma_f64 v[28:29], v[48:49], v[30:31], -v[28:29]
	s_waitcnt lgkmcnt(1)
	v_mul_f64 v[30:31], v[46:47], v[26:27]
	v_fmac_f64_e32 v[30:31], v[44:45], v[24:25]
	v_mul_f64 v[24:25], v[46:47], v[24:25]
	v_fma_f64 v[24:25], v[44:45], v[26:27], -v[24:25]
	v_mul_f64 v[26:27], v[66:67], v[22:23]
	v_mul_f64 v[46:47], v[62:63], v[18:19]
	s_waitcnt lgkmcnt(0)
	v_mul_f64 v[50:51], v[58:59], v[14:15]
	v_fmac_f64_e32 v[26:27], v[64:65], v[20:21]
	v_mul_f64 v[20:21], v[66:67], v[20:21]
	v_fmac_f64_e32 v[46:47], v[60:61], v[16:17]
	v_mul_f64 v[16:17], v[62:63], v[16:17]
	v_fmac_f64_e32 v[50:51], v[56:57], v[12:13]
	v_mul_f64 v[12:13], v[58:59], v[12:13]
	v_fma_f64 v[44:45], v[64:65], v[22:23], -v[20:21]
	v_fma_f64 v[48:49], v[60:61], v[18:19], -v[16:17]
	v_fma_f64 v[56:57], v[56:57], v[14:15], -v[12:13]
	v_add_f64 v[20:21], v[8:9], -v[54:55]
	v_add_f64 v[22:23], v[10:11], -v[28:29]
	;; [unrolled: 1-line block ×7, first 2 shown]
	v_fma_f64 v[12:13], v[8:9], 2.0, -v[20:21]
	v_fma_f64 v[14:15], v[10:11], 2.0, -v[22:23]
	;; [unrolled: 1-line block ×4, first 2 shown]
	v_add_f64 v[46:47], v[4:5], -v[46:47]
	v_fma_f64 v[28:29], v[6:7], 2.0, -v[48:49]
	v_fma_f64 v[6:7], v[44:45], 2.0, -v[50:51]
	v_add_f64 v[8:9], v[12:13], -v[8:9]
	v_add_f64 v[10:11], v[14:15], -v[10:11]
	v_fma_f64 v[24:25], v[4:5], 2.0, -v[46:47]
	v_fma_f64 v[4:5], v[26:27], 2.0, -v[30:31]
	v_add_f64 v[6:7], v[28:29], -v[6:7]
	v_fma_f64 v[12:13], v[12:13], 2.0, -v[8:9]
	v_fma_f64 v[14:15], v[14:15], 2.0, -v[10:11]
	v_add_f64 v[16:17], v[20:21], v[16:17]
	v_add_f64 v[18:19], v[22:23], -v[18:19]
	v_add_f64 v[4:5], v[24:25], -v[4:5]
	v_fma_f64 v[26:27], v[28:29], 2.0, -v[6:7]
	v_add_f64 v[28:29], v[46:47], v[50:51]
	v_add_f64 v[30:31], v[48:49], -v[30:31]
	v_fma_f64 v[20:21], v[20:21], 2.0, -v[16:17]
	v_fma_f64 v[22:23], v[22:23], 2.0, -v[18:19]
	;; [unrolled: 1-line block ×5, first 2 shown]
	ds_write_b128 v128, v[12:15]
	ds_write_b128 v128, v[20:23] offset:1584
	ds_write_b128 v128, v[8:11] offset:3168
	;; [unrolled: 1-line block ×7, first 2 shown]
	s_and_saveexec_b64 s[0:1], s[2:3]
	s_cbranch_execz .LBB0_21
; %bb.20:
	v_mul_f64 v[4:5], v[42:43], v[112:113]
	v_fma_f64 v[4:5], v[40:41], v[114:115], -v[4:5]
	v_add_f64 v[12:13], v[2:3], -v[4:5]
	v_mul_f64 v[16:17], v[38:39], v[110:111]
	v_mul_f64 v[4:5], v[34:35], v[70:71]
	v_fmac_f64_e32 v[16:17], v[36:37], v[108:109]
	v_fmac_f64_e32 v[4:5], v[32:33], v[68:69]
	v_add_f64 v[18:19], v[16:17], -v[4:5]
	v_mul_f64 v[4:5], v[42:43], v[114:115]
	v_fmac_f64_e32 v[4:5], v[40:41], v[112:113]
	v_add_f64 v[20:21], v[0:1], -v[4:5]
	v_mul_f64 v[4:5], v[38:39], v[108:109]
	v_fma_f64 v[14:15], v[36:37], v[110:111], -v[4:5]
	v_mul_f64 v[4:5], v[34:35], v[68:69]
	v_fma_f64 v[4:5], v[32:33], v[70:71], -v[4:5]
	v_add_f64 v[6:7], v[12:13], -v[18:19]
	v_add_f64 v[22:23], v[14:15], -v[4:5]
	v_fma_f64 v[10:11], v[12:13], 2.0, -v[6:7]
	v_fma_f64 v[12:13], v[2:3], 2.0, -v[12:13]
	;; [unrolled: 1-line block ×3, first 2 shown]
	v_add_f64 v[2:3], v[12:13], -v[2:3]
	v_fma_f64 v[14:15], v[12:13], 2.0, -v[2:3]
	v_fma_f64 v[12:13], v[0:1], 2.0, -v[20:21]
	;; [unrolled: 1-line block ×3, first 2 shown]
	v_add_f64 v[0:1], v[12:13], -v[0:1]
	v_add_f64 v[4:5], v[20:21], v[22:23]
	v_fma_f64 v[12:13], v[12:13], 2.0, -v[0:1]
	v_fma_f64 v[8:9], v[20:21], 2.0, -v[4:5]
	ds_write_b128 v128, v[12:15] offset:1408
	ds_write_b128 v128, v[8:11] offset:2992
	;; [unrolled: 1-line block ×4, first 2 shown]
.LBB0_21:
	s_or_b64 exec, exec, s[0:1]
	s_waitcnt lgkmcnt(0)
	; wave barrier
	s_waitcnt lgkmcnt(0)
	s_and_b64 exec, exec, s[4:5]
	s_cbranch_execz .LBB0_23
; %bb.22:
	global_load_dwordx4 v[0:3], v128, s[12:13]
	global_load_dwordx4 v[4:7], v128, s[12:13] offset:576
	global_load_dwordx4 v[8:11], v128, s[12:13] offset:1152
	;; [unrolled: 1-line block ×5, first 2 shown]
	ds_read_b128 v[24:27], v128
	ds_read_b128 v[28:31], v128 offset:576
	ds_read_b128 v[32:35], v128 offset:1152
	;; [unrolled: 1-line block ×5, first 2 shown]
	global_load_dwordx4 v[48:51], v128, s[12:13] offset:3456
	global_load_dwordx4 v[52:55], v128, s[12:13] offset:4032
	v_mov_b32_e32 v129, 0
	v_mad_u64_u32 v[76:77], s[2:3], s8, v212, 0
	v_mad_u64_u32 v[74:75], s[0:1], s10, v130, 0
	s_movk_i32 s3, 0x1000
	v_lshl_add_u64 v[62:63], s[12:13], 0, v[128:129]
	v_mov_b32_e32 v60, v75
	v_mov_b32_e32 v64, v77
	v_add_co_u32_e32 v78, vcc, s3, v62
	v_mad_u64_u32 v[60:61], s[4:5], s11, v130, v[60:61]
	v_mad_u64_u32 v[64:65], s[4:5], s9, v212, v[64:65]
	v_addc_co_u32_e32 v79, vcc, 0, v63, vcc
	ds_read_b128 v[56:59], v128 offset:5760
	v_mov_b32_e32 v75, v60
	v_mov_b32_e32 v77, v64
	global_load_dwordx4 v[60:63], v[78:79], off offset:512
	global_load_dwordx4 v[64:67], v[78:79], off offset:1088
	;; [unrolled: 1-line block ×3, first 2 shown]
	v_mov_b32_e32 v72, s14
	v_mov_b32_e32 v73, s15
	v_lshl_add_u64 v[72:73], v[74:75], 4, v[72:73]
	v_mov_b32_e32 v90, 0x240
	v_lshl_add_u64 v[72:73], v[76:77], 4, v[72:73]
	s_mul_i32 s2, s9, 0x240
	v_mad_u64_u32 v[74:75], s[4:5], s8, v90, v[72:73]
	v_add_u32_e32 v75, s2, v75
	s_mov_b32 s0, 0xa052bf5b
	v_mad_u64_u32 v[76:77], s[4:5], s8, v90, v[74:75]
	s_mov_b32 s1, 0x3f64afd6
	v_add_u32_e32 v77, s2, v77
	v_mad_u64_u32 v[78:79], s[4:5], s8, v90, v[76:77]
	v_add_u32_e32 v79, s2, v79
	s_waitcnt vmcnt(10) lgkmcnt(6)
	v_mul_f64 v[80:81], v[26:27], v[2:3]
	v_mul_f64 v[2:3], v[24:25], v[2:3]
	s_waitcnt vmcnt(9) lgkmcnt(5)
	v_mul_f64 v[82:83], v[30:31], v[6:7]
	v_mul_f64 v[6:7], v[28:29], v[6:7]
	;; [unrolled: 3-line block ×4, first 2 shown]
	v_fmac_f64_e32 v[80:81], v[24:25], v[0:1]
	v_fma_f64 v[2:3], v[0:1], v[26:27], -v[2:3]
	v_fmac_f64_e32 v[82:83], v[28:29], v[4:5]
	v_fma_f64 v[6:7], v[4:5], v[30:31], -v[6:7]
	;; [unrolled: 2-line block ×4, first 2 shown]
	v_mul_f64 v[0:1], v[80:81], s[0:1]
	v_mul_f64 v[2:3], v[2:3], s[0:1]
	s_waitcnt vmcnt(6) lgkmcnt(2)
	v_mul_f64 v[88:89], v[42:43], v[18:19]
	v_mul_f64 v[4:5], v[82:83], s[0:1]
	;; [unrolled: 1-line block ×7, first 2 shown]
	global_store_dwordx4 v[72:73], v[0:3], off
	global_store_dwordx4 v[74:75], v[4:7], off
	;; [unrolled: 1-line block ×4, first 2 shown]
	v_mul_f64 v[2:3], v[40:41], v[18:19]
	v_fmac_f64_e32 v[88:89], v[40:41], v[16:17]
	v_fma_f64 v[2:3], v[16:17], v[42:43], -v[2:3]
	v_mad_u64_u32 v[8:9], s[4:5], s8, v90, v[78:79]
	v_mul_f64 v[0:1], v[88:89], s[0:1]
	v_mul_f64 v[2:3], v[2:3], s[0:1]
	v_add_u32_e32 v9, s2, v9
	global_store_dwordx4 v[8:9], v[0:3], off
	ds_read_b128 v[4:7], v128 offset:3456
	v_mad_u64_u32 v[12:13], s[4:5], s8, v90, v[8:9]
	s_waitcnt vmcnt(10) lgkmcnt(2)
	v_mul_f64 v[0:1], v[46:47], v[22:23]
	v_mul_f64 v[2:3], v[44:45], v[22:23]
	v_fmac_f64_e32 v[0:1], v[44:45], v[20:21]
	v_fma_f64 v[2:3], v[20:21], v[46:47], -v[2:3]
	v_mul_f64 v[0:1], v[0:1], s[0:1]
	v_mul_f64 v[2:3], v[2:3], s[0:1]
	v_add_u32_e32 v13, s2, v13
	global_store_dwordx4 v[12:13], v[0:3], off
	ds_read_b128 v[0:3], v128 offset:4032
	s_waitcnt vmcnt(10) lgkmcnt(1)
	v_mul_f64 v[8:9], v[6:7], v[50:51]
	v_fmac_f64_e32 v[8:9], v[4:5], v[48:49]
	v_mul_f64 v[4:5], v[4:5], v[50:51]
	v_fma_f64 v[4:5], v[48:49], v[6:7], -v[4:5]
	v_mul_f64 v[10:11], v[4:5], s[0:1]
	s_waitcnt vmcnt(9) lgkmcnt(0)
	v_mul_f64 v[4:5], v[2:3], v[54:55]
	v_fmac_f64_e32 v[4:5], v[0:1], v[52:53]
	v_mul_f64 v[0:1], v[0:1], v[54:55]
	v_mad_u64_u32 v[12:13], s[4:5], s8, v90, v[12:13]
	v_fma_f64 v[0:1], v[52:53], v[2:3], -v[0:1]
	v_mul_f64 v[8:9], v[8:9], s[0:1]
	v_add_u32_e32 v13, s2, v13
	v_mul_f64 v[6:7], v[0:1], s[0:1]
	ds_read_b128 v[0:3], v128 offset:4608
	global_store_dwordx4 v[12:13], v[8:11], off
	v_mad_u64_u32 v[12:13], s[4:5], s8, v90, v[12:13]
	v_mul_f64 v[4:5], v[4:5], s[0:1]
	v_add_u32_e32 v13, s2, v13
	global_store_dwordx4 v[12:13], v[4:7], off
	ds_read_b128 v[4:7], v128 offset:5184
	s_waitcnt vmcnt(10) lgkmcnt(1)
	v_mul_f64 v[8:9], v[2:3], v[62:63]
	v_fmac_f64_e32 v[8:9], v[0:1], v[60:61]
	v_mul_f64 v[0:1], v[0:1], v[62:63]
	v_fma_f64 v[0:1], v[60:61], v[2:3], -v[0:1]
	v_mad_u64_u32 v[12:13], s[4:5], s8, v90, v[12:13]
	v_mul_f64 v[10:11], v[0:1], s[0:1]
	v_add_u32_e32 v13, s2, v13
	s_waitcnt vmcnt(9) lgkmcnt(0)
	v_mul_f64 v[0:1], v[6:7], v[66:67]
	v_mul_f64 v[2:3], v[4:5], v[66:67]
	v_fmac_f64_e32 v[0:1], v[4:5], v[64:65]
	v_fma_f64 v[2:3], v[64:65], v[6:7], -v[2:3]
	v_mad_u64_u32 v[4:5], s[4:5], s8, v90, v[12:13]
	v_mul_f64 v[8:9], v[8:9], s[0:1]
	v_mul_f64 v[0:1], v[0:1], s[0:1]
	;; [unrolled: 1-line block ×3, first 2 shown]
	v_add_u32_e32 v5, s2, v5
	global_store_dwordx4 v[12:13], v[8:11], off
	global_store_dwordx4 v[4:5], v[0:3], off
	s_waitcnt vmcnt(10)
	s_nop 0
	v_mul_f64 v[0:1], v[58:59], v[70:71]
	v_mul_f64 v[2:3], v[56:57], v[70:71]
	v_fmac_f64_e32 v[0:1], v[56:57], v[68:69]
	v_fma_f64 v[2:3], v[68:69], v[58:59], -v[2:3]
	v_mul_f64 v[0:1], v[0:1], s[0:1]
	v_mul_f64 v[2:3], v[2:3], s[0:1]
	v_mad_u64_u32 v[4:5], s[0:1], s8, v90, v[4:5]
	v_add_u32_e32 v5, s2, v5
	global_store_dwordx4 v[4:5], v[0:3], off
.LBB0_23:
	s_endpgm
	.section	.rodata,"a",@progbits
	.p2align	6, 0x0
	.amdhsa_kernel bluestein_single_back_len396_dim1_dp_op_CI_CI
		.amdhsa_group_segment_fixed_size 6336
		.amdhsa_private_segment_fixed_size 0
		.amdhsa_kernarg_size 104
		.amdhsa_user_sgpr_count 2
		.amdhsa_user_sgpr_dispatch_ptr 0
		.amdhsa_user_sgpr_queue_ptr 0
		.amdhsa_user_sgpr_kernarg_segment_ptr 1
		.amdhsa_user_sgpr_dispatch_id 0
		.amdhsa_user_sgpr_kernarg_preload_length 0
		.amdhsa_user_sgpr_kernarg_preload_offset 0
		.amdhsa_user_sgpr_private_segment_size 0
		.amdhsa_uses_dynamic_stack 0
		.amdhsa_enable_private_segment 0
		.amdhsa_system_sgpr_workgroup_id_x 1
		.amdhsa_system_sgpr_workgroup_id_y 0
		.amdhsa_system_sgpr_workgroup_id_z 0
		.amdhsa_system_sgpr_workgroup_info 0
		.amdhsa_system_vgpr_workitem_id 0
		.amdhsa_next_free_vgpr 290
		.amdhsa_next_free_sgpr 44
		.amdhsa_accum_offset 256
		.amdhsa_reserve_vcc 1
		.amdhsa_float_round_mode_32 0
		.amdhsa_float_round_mode_16_64 0
		.amdhsa_float_denorm_mode_32 3
		.amdhsa_float_denorm_mode_16_64 3
		.amdhsa_dx10_clamp 1
		.amdhsa_ieee_mode 1
		.amdhsa_fp16_overflow 0
		.amdhsa_tg_split 0
		.amdhsa_exception_fp_ieee_invalid_op 0
		.amdhsa_exception_fp_denorm_src 0
		.amdhsa_exception_fp_ieee_div_zero 0
		.amdhsa_exception_fp_ieee_overflow 0
		.amdhsa_exception_fp_ieee_underflow 0
		.amdhsa_exception_fp_ieee_inexact 0
		.amdhsa_exception_int_div_zero 0
	.end_amdhsa_kernel
	.text
.Lfunc_end0:
	.size	bluestein_single_back_len396_dim1_dp_op_CI_CI, .Lfunc_end0-bluestein_single_back_len396_dim1_dp_op_CI_CI
                                        ; -- End function
	.section	.AMDGPU.csdata,"",@progbits
; Kernel info:
; codeLenInByte = 13392
; NumSgprs: 50
; NumVgprs: 256
; NumAgprs: 34
; TotalNumVgprs: 290
; ScratchSize: 0
; MemoryBound: 0
; FloatMode: 240
; IeeeMode: 1
; LDSByteSize: 6336 bytes/workgroup (compile time only)
; SGPRBlocks: 6
; VGPRBlocks: 36
; NumSGPRsForWavesPerEU: 50
; NumVGPRsForWavesPerEU: 290
; AccumOffset: 256
; Occupancy: 1
; WaveLimiterHint : 1
; COMPUTE_PGM_RSRC2:SCRATCH_EN: 0
; COMPUTE_PGM_RSRC2:USER_SGPR: 2
; COMPUTE_PGM_RSRC2:TRAP_HANDLER: 0
; COMPUTE_PGM_RSRC2:TGID_X_EN: 1
; COMPUTE_PGM_RSRC2:TGID_Y_EN: 0
; COMPUTE_PGM_RSRC2:TGID_Z_EN: 0
; COMPUTE_PGM_RSRC2:TIDIG_COMP_CNT: 0
; COMPUTE_PGM_RSRC3_GFX90A:ACCUM_OFFSET: 63
; COMPUTE_PGM_RSRC3_GFX90A:TG_SPLIT: 0
	.text
	.p2alignl 6, 3212836864
	.fill 256, 4, 3212836864
	.type	__hip_cuid_d715b7a40830fb8f,@object ; @__hip_cuid_d715b7a40830fb8f
	.section	.bss,"aw",@nobits
	.globl	__hip_cuid_d715b7a40830fb8f
__hip_cuid_d715b7a40830fb8f:
	.byte	0                               ; 0x0
	.size	__hip_cuid_d715b7a40830fb8f, 1

	.ident	"AMD clang version 19.0.0git (https://github.com/RadeonOpenCompute/llvm-project roc-6.4.0 25133 c7fe45cf4b819c5991fe208aaa96edf142730f1d)"
	.section	".note.GNU-stack","",@progbits
	.addrsig
	.addrsig_sym __hip_cuid_d715b7a40830fb8f
	.amdgpu_metadata
---
amdhsa.kernels:
  - .agpr_count:     34
    .args:
      - .actual_access:  read_only
        .address_space:  global
        .offset:         0
        .size:           8
        .value_kind:     global_buffer
      - .actual_access:  read_only
        .address_space:  global
        .offset:         8
        .size:           8
        .value_kind:     global_buffer
      - .actual_access:  read_only
        .address_space:  global
        .offset:         16
        .size:           8
        .value_kind:     global_buffer
      - .actual_access:  read_only
        .address_space:  global
        .offset:         24
        .size:           8
        .value_kind:     global_buffer
      - .actual_access:  read_only
        .address_space:  global
        .offset:         32
        .size:           8
        .value_kind:     global_buffer
      - .offset:         40
        .size:           8
        .value_kind:     by_value
      - .address_space:  global
        .offset:         48
        .size:           8
        .value_kind:     global_buffer
      - .address_space:  global
        .offset:         56
        .size:           8
        .value_kind:     global_buffer
      - .address_space:  global
        .offset:         64
        .size:           8
        .value_kind:     global_buffer
      - .address_space:  global
        .offset:         72
        .size:           8
        .value_kind:     global_buffer
      - .offset:         80
        .size:           4
        .value_kind:     by_value
      - .address_space:  global
        .offset:         88
        .size:           8
        .value_kind:     global_buffer
      - .address_space:  global
        .offset:         96
        .size:           8
        .value_kind:     global_buffer
    .group_segment_fixed_size: 6336
    .kernarg_segment_align: 8
    .kernarg_segment_size: 104
    .language:       OpenCL C
    .language_version:
      - 2
      - 0
    .max_flat_workgroup_size: 44
    .name:           bluestein_single_back_len396_dim1_dp_op_CI_CI
    .private_segment_fixed_size: 0
    .sgpr_count:     50
    .sgpr_spill_count: 0
    .symbol:         bluestein_single_back_len396_dim1_dp_op_CI_CI.kd
    .uniform_work_group_size: 1
    .uses_dynamic_stack: false
    .vgpr_count:     290
    .vgpr_spill_count: 0
    .wavefront_size: 64
amdhsa.target:   amdgcn-amd-amdhsa--gfx950
amdhsa.version:
  - 1
  - 2
...

	.end_amdgpu_metadata
